;; amdgpu-corpus repo=ROCm/aiter kind=harvested arch=n/a opt=n/a

/root/src/amdgpu-assembly/repos/ROCm__aiter/hsa/gfx942/fmoe_int4fp8_g1u1_subGU_512_gelu.co:	file format elf64-amdgpu

Disassembly of section .text:

0000000000002b00 <fmoe_int4fp8_g1u1_subGU_512_gelu>:
	s_and_b32 s1, s1, 0xffff                                   // 000000002B00: 8601FF01 0000FFFF
	s_load_dwordx2 s[8:9], s[0:1], 0x0                         // 000000002B08: C0060200 00000000
	s_load_dwordx2 s[20:21], s[0:1], 0x10                      // 000000002B10: C0060500 00000010
	s_load_dwordx2 s[24:25], s[0:1], 0x20                      // 000000002B18: C0060600 00000020
	s_load_dwordx2 s[50:51], s[0:1], 0x30                      // 000000002B20: C0060C80 00000030
	s_load_dwordx2 s[12:13], s[0:1], 0x40                      // 000000002B28: C0060300 00000040
	s_load_dwordx2 s[28:29], s[0:1], 0x50                      // 000000002B30: C0060700 00000050
	s_load_dwordx2 s[32:33], s[0:1], 0x60                      // 000000002B38: C0060800 00000060
	s_load_dwordx2 s[16:17], s[0:1], 0x70                      // 000000002B40: C0060400 00000070
	s_load_dwordx2 s[36:37], s[0:1], 0x80                      // 000000002B48: C0060900 00000080
	s_load_dwordx2 s[44:45], s[0:1], 0x90                      // 000000002B50: C0060B00 00000090
	s_load_dwordx2 s[40:41], s[0:1], 0xa0                      // 000000002B58: C0060A00 000000A0
	s_load_dwordx2 s[46:47], s[0:1], 0xb0                      // 000000002B60: C0060B80 000000B0
	s_load_dword s64, s[0:1], 0xc0                             // 000000002B68: C0021000 000000C0
	s_load_dword s65, s[0:1], 0xd0                             // 000000002B70: C0021040 000000D0
	s_load_dword s66, s[0:1], 0xe0                             // 000000002B78: C0021080 000000E0
	s_load_dword s67, s[0:1], 0xf0                             // 000000002B80: C00210C0 000000F0
	s_load_dword s68, s[0:1], 0x100                            // 000000002B88: C0021100 00000100
	s_load_dword s69, s[0:1], 0x110                            // 000000002B90: C0021140 00000110
	s_load_dword s70, s[0:1], 0x120                            // 000000002B98: C0021180 00000120
	s_load_dword s71, s[0:1], 0x130                            // 000000002BA0: C00211C0 00000130
	s_load_dword s72, s[0:1], 0x140                            // 000000002BA8: C0021200 00000140
	s_load_dword s73, s[0:1], 0x150                            // 000000002BB0: C0021240 00000150
	s_load_dword s74, s[0:1], 0x160                            // 000000002BB8: C0021280 00000160
	s_load_dword s75, s[0:1], 0x170                            // 000000002BC0: C00212C0 00000170
	s_load_dword s76, s[0:1], 0x180                            // 000000002BC8: C0021300 00000180
	v_lshrrev_b32_e32 v1, 10, v0                               // 000000002BD0: 2002008A
	v_lshrrev_b32_e32 v2, 10, v1                               // 000000002BD4: 2004028A
	v_and_b32_e32 v2, 0x3ff, v2                                // 000000002BD8: 260404FF 000003FF
	v_and_b32_e32 v1, 0x3ff, v1                                // 000000002BE0: 260202FF 000003FF
	v_and_b32_e32 v0, 0x3ff, v0                                // 000000002BE8: 260000FF 000003FF
	v_lshrrev_b32_e32 v3, 6, v0                                // 000000002BF0: 20060086
	v_and_b32_e32 v0, 63, v0                                   // 000000002BF4: 260000BF
	s_mov_b32 s2, s2                                           // 000000002BF8: BE820002
	s_mov_b32 s3, s3                                           // 000000002BFC: BE830003
	s_mov_b32 s4, s4                                           // 000000002C00: BE840004
	v_readfirstlane_b32 s7, v3                                 // 000000002C04: 7E0E0503
	s_waitcnt lgkmcnt(0)                                       // 000000002C08: BF8CC07F
	s_and_b32 s51, s51, 0xffff                                 // 000000002C0C: 8633FF33 0000FFFF
	s_load_dword s50, s[50:51], 0x0                            // 000000002C14: C0020C99 00000000
	s_and_b32 s45, s45, 0xffff                                 // 000000002C1C: 862DFF2D 0000FFFF
	s_and_b32 s47, s47, 0xffff                                 // 000000002C24: 862FFF2F 0000FFFF
	s_and_b32 s9, s9, 0xffff                                   // 000000002C2C: 8609FF09 0000FFFF
	s_mul_i32 s60, s66, s68                                    // 000000002C34: 923C4442
	s_mul_i32 s61, s66, 4                                      // 000000002C38: 923D8442
	s_mov_b32 s22, s60                                         // 000000002C3C: BE96003C
	s_mov_b32 s26, 0x80000000                                  // 000000002C40: BE9A00FF 80000000
	s_mov_b32 s14, 0x80000000                                  // 000000002C48: BE8E00FF 80000000
	s_mov_b32 s42, 0x80000000                                  // 000000002C50: BEAA00FF 80000000
	s_mov_b32 s30, s61                                         // 000000002C58: BE9E003D
	s_mov_b32 s34, 0x800                                       // 000000002C5C: BEA200FF 00000800
	s_mov_b32 s38, 0x800                                       // 000000002C64: BEA600FF 00000800
	s_mov_b32 s18, 0x80000000                                  // 000000002C6C: BE9200FF 80000000
	s_mov_b32 s23, 0x20000                                     // 000000002C74: BE9700FF 00020000
	s_mov_b32 s27, 0x20000                                     // 000000002C7C: BE9B00FF 00020000
	s_mov_b32 s15, 0x20000                                     // 000000002C84: BE8F00FF 00020000
	s_mov_b32 s43, 0x20000                                     // 000000002C8C: BEAB00FF 00020000
	s_mov_b32 s31, 0x20000                                     // 000000002C94: BE9F00FF 00020000
	s_mov_b32 s35, 0x20000                                     // 000000002C9C: BEA300FF 00020000
	s_mov_b32 s39, 0x20000                                     // 000000002CA4: BEA700FF 00020000
	s_mov_b32 s19, 0x20000                                     // 000000002CAC: BE9300FF 00020000
	s_and_b32 s21, s21, 0xffff                                 // 000000002CB4: 8615FF15 0000FFFF
	s_and_b32 s25, s25, 0xffff                                 // 000000002CBC: 8619FF19 0000FFFF
	s_and_b32 s13, s13, 0xffff                                 // 000000002CC4: 860DFF0D 0000FFFF
	s_and_b32 s41, s41, 0xffff                                 // 000000002CCC: 8629FF29 0000FFFF
	s_and_b32 s29, s29, 0xffff                                 // 000000002CD4: 861DFF1D 0000FFFF
	s_and_b32 s33, s33, 0xffff                                 // 000000002CDC: 8621FF21 0000FFFF
	s_and_b32 s37, s37, 0xffff                                 // 000000002CE4: 8625FF25 0000FFFF
	s_and_b32 s17, s17, 0xffff                                 // 000000002CEC: 8611FF11 0000FFFF
	s_or_b32 s21, s21, 0x40000                                 // 000000002CF4: 8715FF15 00040000
	s_or_b32 s25, s25, 0x40000                                 // 000000002CFC: 8719FF19 00040000
	s_or_b32 s13, s13, 0x40000                                 // 000000002D04: 870DFF0D 00040000
	s_or_b32 s41, s41, 0x40000                                 // 000000002D0C: 8729FF29 00040000
	s_or_b32 s29, s29, 0x40000                                 // 000000002D14: 871DFF1D 00040000
	s_or_b32 s33, s33, 0x40000                                 // 000000002D1C: 8721FF21 00040000
	s_or_b32 s37, s37, 0x40000                                 // 000000002D24: 8725FF25 00040000
	s_or_b32 s17, s17, 0x40000                                 // 000000002D2C: 8711FF11 00040000
	v_accvgpr_write_b32 a255, 0                                // 000000002D34: D3D940FF 18000080
	v_mov_b32_e32 v255, 0                                      // 000000002D3C: 7FFE0280
	s_waitcnt lgkmcnt(0)                                       // 000000002D40: BF8CC07F
	s_mul_i32 s60, s3, 32                                      // 000000002D44: 923CA003
	s_cmp_lt_i32 s60, s50                                      // 000000002D48: BF04323C
	s_cbranch_scc0 label_42C3                                  // 000000002D4C: BF84422F
	s_mov_b32 s80, 0                                           // 000000002D50: BED00080
	s_mov_b32 s81, s64                                         // 000000002D54: BED10040
	s_mul_i32 s60, s3, 4                                       // 000000002D58: 923C8403
	s_add_u32 s46, s60, s46                                    // 000000002D5C: 802E2E3C
	s_addc_u32 s47, 0, s47                                     // 000000002D60: 822F2F80
	s_load_dword s5, s[46:47], 0x0                             // 000000002D64: C0020157 00000000
	s_mul_i32 s60, s3, 32                                      // 000000002D6C: 923CA003
	s_mul_i32 s60, 4, s60                                      // 000000002D70: 923C3C84
	v_and_b32_e32 v52, 15, v0                                  // 000000002D74: 2668008F
	v_lshlrev_b32_e32 v52, 2, v52                              // 000000002D78: 24686882
	v_add_u32_e32 v52, s60, v52                                // 000000002D7C: 6868683C
	v_mov_b32_e32 v53, 0                                       // 000000002D80: 7E6A0280
	global_load_dword v6, v52, s[44:45]                        // 000000002D84: DC508000 062C0034
	v_add_u32_e32 v52, 64, v52                                 // 000000002D8C: 686868C0
	global_load_dword v7, v52, s[44:45]                        // 000000002D90: DC508000 072C0034
	s_mul_i32 s60, s3, 32                                      // 000000002D98: 923CA003
	s_add_u32 s60, s7, s60                                     // 000000002D9C: 803C3C07
	s_mul_i32 s60, 4, s60                                      // 000000002DA0: 923C3C84
	s_add_u32 s44, s60, s44                                    // 000000002DA4: 802C2C3C
	s_addc_u32 s45, 0, s45                                     // 000000002DA8: 822D2D80
	s_load_dword s82, s[44:45], 0x0                            // 000000002DAC: C0021496 00000000
	s_load_dword s83, s[44:45], 0x10                           // 000000002DB4: C00214D6 00000010
	s_load_dword s84, s[44:45], 0x20                           // 000000002DBC: C0021516 00000020
	s_load_dword s85, s[44:45], 0x30                           // 000000002DC4: C0021556 00000030
	s_load_dword s86, s[44:45], 0x40                           // 000000002DCC: C0021596 00000040
	s_load_dword s87, s[44:45], 0x50                           // 000000002DD4: C00215D6 00000050
	s_load_dword s88, s[44:45], 0x60                           // 000000002DDC: C0021616 00000060
	s_load_dword s89, s[44:45], 0x70                           // 000000002DE4: C0021656 00000070
	s_waitcnt lgkmcnt(0)                                       // 000000002DEC: BF8CC07F
	v_lshlrev_b32_e32 v52, 2, v0                               // 000000002DF0: 24680082
	s_and_b32 s82, s82, 0xffffff                               // 000000002DF4: 8652FF52 00FFFFFF
	s_mul_i32 s60, s82, s68                                    // 000000002DFC: 923C4452
	v_add_u32_e64 v26, v52, s60                                // 000000002E00: D134001A 00007934
	s_and_b32 s83, s83, 0xffffff                               // 000000002E08: 8653FF53 00FFFFFF
	s_mul_i32 s60, s83, s68                                    // 000000002E10: 923C4453
	v_add_u32_e64 v27, v52, s60                                // 000000002E14: D134001B 00007934
	s_and_b32 s84, s84, 0xffffff                               // 000000002E1C: 8654FF54 00FFFFFF
	s_mul_i32 s60, s84, s68                                    // 000000002E24: 923C4454
	v_add_u32_e64 v28, v52, s60                                // 000000002E28: D134001C 00007934
	s_and_b32 s85, s85, 0xffffff                               // 000000002E30: 8655FF55 00FFFFFF
	s_mul_i32 s60, s85, s68                                    // 000000002E38: 923C4455
	v_add_u32_e64 v29, v52, s60                                // 000000002E3C: D134001D 00007934
	s_and_b32 s86, s86, 0xffffff                               // 000000002E44: 8656FF56 00FFFFFF
	s_mul_i32 s60, s86, s68                                    // 000000002E4C: 923C4456
	v_add_u32_e64 v30, v52, s60                                // 000000002E50: D134001E 00007934
	s_and_b32 s87, s87, 0xffffff                               // 000000002E58: 8657FF57 00FFFFFF
	s_mul_i32 s60, s87, s68                                    // 000000002E60: 923C4457
	v_add_u32_e64 v31, v52, s60                                // 000000002E64: D134001F 00007934
	s_and_b32 s88, s88, 0xffffff                               // 000000002E6C: 8658FF58 00FFFFFF
	s_mul_i32 s60, s88, s68                                    // 000000002E74: 923C4458
	v_add_u32_e64 v32, v52, s60                                // 000000002E78: D1340020 00007934
	s_and_b32 s89, s89, 0xffffff                               // 000000002E80: 8659FF59 00FFFFFF
	s_mul_i32 s60, s89, s68                                    // 000000002E88: 923C4459
	v_add_u32_e64 v33, v52, s60                                // 000000002E8C: D1340021 00007934
	v_lshlrev_b32_e32 v52, 2, v0                               // 000000002E94: 24680082
	s_mul_i32 s60, s82, s71                                    // 000000002E98: 923C4752
	v_add_u32_e64 v80, v52, s60                                // 000000002E9C: D1340050 00007934
	v_mov_b32_e32 v81, 0                                       // 000000002EA4: 7EA20280
	s_mul_i32 s60, s83, s71                                    // 000000002EA8: 923C4753
	v_add_u32_e64 v82, v52, s60                                // 000000002EAC: D1340052 00007934
	v_mov_b32_e32 v83, 0                                       // 000000002EB4: 7EA60280
	s_mul_i32 s60, s84, s71                                    // 000000002EB8: 923C4754
	v_add_u32_e64 v84, v52, s60                                // 000000002EBC: D1340054 00007934
	v_mov_b32_e32 v85, 0                                       // 000000002EC4: 7EAA0280
	s_mul_i32 s60, s85, s71                                    // 000000002EC8: 923C4755
	v_add_u32_e64 v86, v52, s60                                // 000000002ECC: D1340056 00007934
	v_mov_b32_e32 v87, 0                                       // 000000002ED4: 7EAE0280
	s_mul_i32 s60, s86, s71                                    // 000000002ED8: 923C4756
	v_add_u32_e64 v88, v52, s60                                // 000000002EDC: D1340058 00007934
	v_mov_b32_e32 v89, 0                                       // 000000002EE4: 7EB20280
	s_mul_i32 s60, s87, s71                                    // 000000002EE8: 923C4757
	v_add_u32_e64 v90, v52, s60                                // 000000002EEC: D134005A 00007934
	v_mov_b32_e32 v91, 0                                       // 000000002EF4: 7EB60280
	s_mul_i32 s60, s88, s71                                    // 000000002EF8: 923C4758
	v_add_u32_e64 v92, v52, s60                                // 000000002EFC: D134005C 00007934
	v_mov_b32_e32 v93, 0                                       // 000000002F04: 7EBA0280
	s_mul_i32 s60, s89, s71                                    // 000000002F08: 923C4759
	v_add_u32_e64 v94, v52, s60                                // 000000002F0C: D134005E 00007934
	v_mov_b32_e32 v95, 0                                       // 000000002F14: 7EBE0280
	s_mul_i32 s60, s7, 0x820                                   // 000000002F18: 923CFF07 00000820
	s_add_u32 s50, 0, s60                                      // 000000002F20: 80323C80
	s_add_u32 s51, 0x2080, s50                                 // 000000002F24: 803332FF 00002080
	v_lshrrev_b32_e32 v52, 4, v0                               // 000000002F2C: 20680084
	v_lshlrev_b32_e32 v53, 3, v52                              // 000000002F30: 246A6883
	v_and_b32_e32 v52, 15, v0                                  // 000000002F34: 2668008F
	v_lshrrev_b32_e32 v54, 2, v52                              // 000000002F38: 206C6882
	v_lshlrev_b32_e32 v54, 6, v54                              // 000000002F3C: 246C6C86
	v_add_u32_e32 v53, v54, v53                                // 000000002F40: 686A6B36
	v_and_b32_e32 v52, 3, v0                                   // 000000002F44: 26680083
	v_mul_i32_i24_e32 v54, 0x208, v52                          // 000000002F48: 0C6C68FF 00000208
	v_add_u32_e32 v53, v54, v53                                // 000000002F50: 686A6B36
	v_lshlrev_b32_e32 v2, 2, v53                               // 000000002F54: 24046A82
	s_mul_i32 s60, s2, 0x200                                   // 000000002F58: 923CFF02 00000200
	s_mul_i32 s60, s60, s69                                    // 000000002F60: 923C453C
	s_mul_i32 s61, s5, s72                                     // 000000002F64: 923D4805
	s_add_u32 s60, s61, s60                                    // 000000002F68: 803C3C3D
	s_add_u32 s24, s60, s24                                    // 000000002F6C: 8018183C
	s_addc_u32 s25, 0, s25                                     // 000000002F70: 82191980
	s_mul_i32 s60, s7, 16                                      // 000000002F74: 923C9007
	s_mul_i32 s60, s60, s69                                    // 000000002F78: 923C453C
	v_lshlrev_b32_e32 v34, 4, v0                               // 000000002F7C: 24440084
	v_add_u32_e32 v34, s60, v34                                // 000000002F80: 6844443C
	s_mul_i32 s60, 64, s69                                     // 000000002F84: 923C45C0
	v_add_u32_e32 v35, s60, v34                                // 000000002F88: 6846443C
	v_add_u32_e32 v36, s60, v35                                // 000000002F8C: 6848463C
	v_add_u32_e32 v37, s60, v36                                // 000000002F90: 684A483C
	v_add_u32_e32 v38, s60, v37                                // 000000002F94: 684C4A3C
	v_add_u32_e32 v39, s60, v38                                // 000000002F98: 684E4C3C
	v_add_u32_e32 v40, s60, v39                                // 000000002F9C: 68504E3C
	v_add_u32_e32 v41, s60, v40                                // 000000002FA0: 6852503C
	s_mov_b32 s92, s24                                         // 000000002FA4: BEDC0018
	s_mov_b32 s93, s25                                         // 000000002FA8: BEDD0019
	s_mov_b32 s94, s26                                         // 000000002FAC: BEDE001A
	s_mov_b32 s95, s27                                         // 000000002FB0: BEDF001B
	s_mul_i32 s60, s69, s65                                    // 000000002FB4: 923C4145
	s_add_u32 s92, s60, s92                                    // 000000002FB8: 805C5C3C
	s_addc_u32 s93, 0, s93                                     // 000000002FBC: 825D5D80
	s_mul_i32 s60, s2, 0x1000                                  // 000000002FC0: 923CFF02 00001000
	s_mul_i32 s61, s5, s73                                     // 000000002FC8: 923D4905
	s_add_u32 s60, s61, s60                                    // 000000002FCC: 803C3C3D
	s_add_u32 s12, s60, s12                                    // 000000002FD0: 800C0C3C
	s_addc_u32 s13, 0, s13                                     // 000000002FD4: 820D0D80
	s_mul_i32 s60, s7, 16                                      // 000000002FD8: 923C9007
	s_mul_i32 s60, s60, s70                                    // 000000002FDC: 923C463C
	v_lshlrev_b32_e32 v42, 4, v0                               // 000000002FE0: 24540084
	v_add_u32_e32 v42, s60, v42                                // 000000002FE4: 6854543C
	s_mul_i32 s60, 64, s70                                     // 000000002FE8: 923C46C0
	v_add_u32_e32 v43, s60, v42                                // 000000002FEC: 6856543C
	v_add_u32_e32 v44, s60, v43                                // 000000002FF0: 6858563C
	v_add_u32_e32 v45, s60, v44                                // 000000002FF4: 685A583C
	s_mul_i32 s60, s70, 0x100                                  // 000000002FF8: 923CFF46 00000100
	s_mov_b32 s78, 0x400                                       // 000000003000: BECE00FF 00000400
	s_mul_i32 s61, s78, 3                                      // 000000003008: 923D834E
	s_sub_u32 s56, s60, s61                                    // 00000000300C: 80B83D3C
	s_mul_i32 s60, s3, 32                                      // 000000003010: 923CA003
	s_mul_i32 s60, 4, s60                                      // 000000003014: 923C3C84
	s_add_u32 s40, s60, s40                                    // 000000003018: 8028283C
	s_addc_u32 s41, 0, s41                                     // 00000000301C: 82292980
	v_and_b32_e32 v52, 15, v0                                  // 000000003020: 2668008F
	v_lshlrev_b32_e32 v8, 2, v52                               // 000000003024: 24106882
	v_add_u32_e32 v9, 64, v8                                   // 000000003028: 681210C0
	v_lshrrev_b32_e32 v52, 4, v0                               // 00000000302C: 20680084
	v_lshlrev_b32_e32 v53, 2, v52                              // 000000003030: 246A6882
	v_and_b32_e32 v52, 15, v0                                  // 000000003034: 2668008F
	v_lshrrev_b32_e32 v54, 2, v52                              // 000000003038: 206C6882
	v_lshlrev_b32_e32 v54, 6, v54                              // 00000000303C: 246C6C86
	v_add_u32_e32 v53, v54, v53                                // 000000003040: 686A6B36
	v_and_b32_e32 v52, 3, v0                                   // 000000003044: 26680083
	v_add_u32_e32 v53, v52, v53                                // 000000003048: 686A6B34
	v_lshlrev_b32_e32 v10, 2, v53                              // 00000000304C: 24146A82
	v_add_u32_e32 v11, 0x400, v10                              // 000000003050: 681614FF 00000400
	s_mul_i32 s60, s7, 16                                      // 000000003058: 923C9007
	s_mul_i32 s60, s60, 4                                      // 00000000305C: 923C843C
	v_add_u32_e32 v10, s60, v10                                // 000000003060: 6814143C
	v_add_u32_e32 v11, s60, v11                                // 000000003064: 6816163C
	v_mov_b32_e32 v5, v10                                      // 000000003068: 7E0A030A
	s_mul_i32 s60, s2, 0x200                                   // 00000000306C: 923CFF02 00000200
	s_mul_i32 s60, s60, 4                                      // 000000003074: 923C843C
	s_mul_i32 s61, s5, s74                                     // 000000003078: 923D4A05
	s_add_u32 s61, s61, s60                                    // 00000000307C: 803D3C3D
	s_mul_i32 s62, s5, s76                                     // 000000003080: 923E4C05
	s_add_u32 s62, s62, s60                                    // 000000003084: 803E3C3E
	s_add_u32 s32, s61, s32                                    // 000000003088: 8020203D
	s_addc_u32 s33, 0, s33                                     // 00000000308C: 82212180
	s_add_u32 s36, s62, s36                                    // 000000003090: 8024243E
	s_addc_u32 s37, 0, s37                                     // 000000003094: 82252580
	s_mul_i32 s60, s5, s75                                     // 000000003098: 923C4B05
	s_add_u32 s16, s60, s16                                    // 00000000309C: 8010103C
	s_addc_u32 s17, 0, s17                                     // 0000000030A0: 82111180
	s_mov_b32 s57, 0x100                                       // 0000000030A4: BEB900FF 00000100
	s_mov_b32 s58, 0x800                                       // 0000000030AC: BEBA00FF 00000800
	s_mov_b32 s79, 0x400                                       // 0000000030B4: BECF00FF 00000400
	s_mov_b32 s59, 0x200                                       // 0000000030BC: BEBB00FF 00000200
	s_mov_b32 s90, s58                                         // 0000000030C4: BEDA003A
	s_mov_b32 s52, 0x7060302                                   // 0000000030C8: BEB400FF 07060302
	s_mov_b32 s53, 0x400                                       // 0000000030D0: BEB500FF 00000400
	s_mov_b32 s54, 0x40100                                     // 0000000030D8: BEB600FF 00040100
	s_mov_b32 s55, 0x4020100                                   // 0000000030E0: BEB700FF 04020100
	s_mov_b32 s6, 0x3fb8aa3b                                   // 0000000030E8: BE8600FF 3FB8AA3B
	s_mov_b32 s77, 0xbd92220c                                  // 0000000030F0: BECD00FF BD92220C
	s_mov_b32 m0, s50                                          // 0000000030F8: BEFC0032
	v_mov_b32_e32 v1, 0xbfcc4231                               // 0000000030FC: 7E0202FF BFCC4231
	v_mov_b32_e32 v47, 0xffff0000                              // 000000003104: 7E5E02FF FFFF0000
	v_mov_b32_e32 v48, 0x7fff0000                              // 00000000310C: 7E6002FF 7FFF0000
	v_mov_b32_e32 v49, 0x7fff                                  // 000000003114: 7E6202FF 00007FFF
	s_waitcnt vmcnt(0) expcnt(0) lgkmcnt(0)                    // 00000000311C: BF8C0000
	v_and_b32_e32 v6, 0xffffff, v6                             // 000000003120: 260C0CFF 00FFFFFF
	v_and_b32_e32 v7, 0xffffff, v7                             // 000000003128: 260E0EFF 00FFFFFF
	v_lshlrev_b32_e32 v6, 2, v6                                // 000000003130: 240C0C82
	v_lshlrev_b32_e32 v7, 2, v7                                // 000000003134: 240E0E82
	buffer_load_dword v14, v6, s[28:31], 0 offen               // 000000003138: E0501000 80070E06
	buffer_load_dword v15, v7, s[28:31], 0 offen               // 000000003140: E0501000 80070F07
	buffer_load_dword v16, v10, s[32:35], 0 offen              // 000000003148: E0501000 8008100A
	buffer_load_dword v17, v11, s[32:35], 0 offen              // 000000003150: E0501000 8008110B
	s_mul_i32 s60, 4, s65                                      // 000000003158: 923C4184
	s_add_u32 s32, s60, s32                                    // 00000000315C: 8020203C
	s_addc_u32 s33, 0, s33                                     // 000000003160: 82212180
	buffer_load_dword v50, v10, s[32:35], 0 offen              // 000000003164: E0501000 8008320A
	buffer_load_dword v51, v11, s[32:35], 0 offen              // 00000000316C: E0501000 8008330B
	buffer_load_dword v18, v10, s[36:39], 0 offen              // 000000003174: E0501000 8009120A
	buffer_load_dword v19, v11, s[36:39], 0 offen              // 00000000317C: E0501000 8009130B
	buffer_load_dword v20, v8, s[40:43], 0 offen               // 000000003184: E0501000 800A1408
	buffer_load_dword v21, v9, s[40:43], 0 offen               // 00000000318C: E0501000 800A1509
	buffer_load_dword v26, s[20:23], 0 offen lds               // 000000003194: E0511000 8005001A
	s_add_u32 m0, 0x100, s50                                   // 00000000319C: 807C32FF 00000100
	buffer_load_dword v27, s[20:23], 0 offen lds               // 0000000031A4: E0511000 8005001B
	s_add_u32 m0, 0x200, s50                                   // 0000000031AC: 807C32FF 00000200
	buffer_load_dword v28, s[20:23], 0 offen lds               // 0000000031B4: E0511000 8005001C
	s_add_u32 m0, 0x300, s50                                   // 0000000031BC: 807C32FF 00000300
	buffer_load_dword v29, s[20:23], 0 offen lds               // 0000000031C4: E0511000 8005001D
	s_add_u32 m0, 0x400, s50                                   // 0000000031CC: 807C32FF 00000400
	buffer_load_dword v30, s[20:23], 0 offen lds               // 0000000031D4: E0511000 8005001E
	s_add_u32 m0, 0x500, s50                                   // 0000000031DC: 807C32FF 00000500
	buffer_load_dword v31, s[20:23], 0 offen lds               // 0000000031E4: E0511000 8005001F
	s_add_u32 m0, 0x600, s50                                   // 0000000031EC: 807C32FF 00000600
	buffer_load_dword v32, s[20:23], 0 offen lds               // 0000000031F4: E0511000 80050020
	s_add_u32 m0, 0x700, s50                                   // 0000000031FC: 807C32FF 00000700
	buffer_load_dword v33, s[20:23], 0 offen lds               // 000000003204: E0511000 80050021
	s_add_u32 m0, 0, s51                                       // 00000000320C: 807C3380
	s_add_u32 s20, s57, s20                                    // 000000003210: 80141439
	s_addc_u32 s21, 0, s21                                     // 000000003214: 82151580
	buffer_load_dwordx4 a[64:67], v34, s[24:27], 0 offen       // 000000003218: E05C1000 80864022
	buffer_load_dwordx4 a[68:71], v34, s[24:27], 0 offen offset:1024// 000000003220: E05C1400 80864422
	buffer_load_dwordx4 a[72:75], v35, s[24:27], 0 offen       // 000000003228: E05C1000 80864823
	buffer_load_dwordx4 a[76:79], v35, s[24:27], 0 offen offset:1024// 000000003230: E05C1400 80864C23
	buffer_load_dwordx4 a[80:83], v36, s[24:27], 0 offen       // 000000003238: E05C1000 80865024
	buffer_load_dwordx4 a[84:87], v36, s[24:27], 0 offen offset:1024// 000000003240: E05C1400 80865424
	buffer_load_dwordx4 a[88:91], v37, s[24:27], 0 offen       // 000000003248: E05C1000 80865825
	buffer_load_dwordx4 a[92:95], v37, s[24:27], 0 offen offset:1024// 000000003250: E05C1400 80865C25
	buffer_load_dwordx4 a[96:99], v38, s[24:27], 0 offen       // 000000003258: E05C1000 80866026
	buffer_load_dwordx4 a[100:103], v38, s[24:27], 0 offen offset:1024// 000000003260: E05C1400 80866426
	buffer_load_dwordx4 a[104:107], v39, s[24:27], 0 offen     // 000000003268: E05C1000 80866827
	buffer_load_dwordx4 a[108:111], v39, s[24:27], 0 offen offset:1024// 000000003270: E05C1400 80866C27
	buffer_load_dwordx4 a[112:115], v40, s[24:27], 0 offen     // 000000003278: E05C1000 80867028
	buffer_load_dwordx4 a[116:119], v40, s[24:27], 0 offen offset:1024// 000000003280: E05C1400 80867428
	buffer_load_dwordx4 a[120:123], v41, s[24:27], 0 offen     // 000000003288: E05C1000 80867829
	buffer_load_dwordx4 a[124:127], v41, s[24:27], 0 offen offset:1024// 000000003290: E05C1400 80867C29
	s_add_u32 s24, s58, s24                                    // 000000003298: 8018183A
	s_addc_u32 s25, 0, s25                                     // 00000000329C: 82191980
	v_mov_b32_e32 v128, 0                                      // 0000000032A0: 7F000280
	v_mov_b32_e32 v64, 0                                       // 0000000032A4: 7E800280
	v_mov_b32_e32 v129, 0                                      // 0000000032A8: 7F020280
	v_mov_b32_e32 v65, 0                                       // 0000000032AC: 7E820280
	v_mov_b32_e32 v130, 0                                      // 0000000032B0: 7F040280
	v_mov_b32_e32 v66, 0                                       // 0000000032B4: 7E840280
	v_mov_b32_e32 v131, 0                                      // 0000000032B8: 7F060280
	v_mov_b32_e32 v67, 0                                       // 0000000032BC: 7E860280
	v_mov_b32_e32 v132, 0                                      // 0000000032C0: 7F080280
	v_mov_b32_e32 v68, 0                                       // 0000000032C4: 7E880280
	v_mov_b32_e32 v133, 0                                      // 0000000032C8: 7F0A0280
	v_mov_b32_e32 v69, 0                                       // 0000000032CC: 7E8A0280
	v_mov_b32_e32 v134, 0                                      // 0000000032D0: 7F0C0280
	v_mov_b32_e32 v70, 0                                       // 0000000032D4: 7E8C0280
	v_mov_b32_e32 v135, 0                                      // 0000000032D8: 7F0E0280
	v_mov_b32_e32 v71, 0                                       // 0000000032DC: 7E8E0280
	v_mov_b32_e32 v136, 0                                      // 0000000032E0: 7F100280
	v_mov_b32_e32 v72, 0                                       // 0000000032E4: 7E900280
	v_mov_b32_e32 v137, 0                                      // 0000000032E8: 7F120280
	v_mov_b32_e32 v73, 0                                       // 0000000032EC: 7E920280
	v_mov_b32_e32 v138, 0                                      // 0000000032F0: 7F140280
	v_mov_b32_e32 v74, 0                                       // 0000000032F4: 7E940280
	v_mov_b32_e32 v139, 0                                      // 0000000032F8: 7F160280
	v_mov_b32_e32 v75, 0                                       // 0000000032FC: 7E960280
	v_mov_b32_e32 v140, 0                                      // 000000003300: 7F180280
	v_mov_b32_e32 v76, 0                                       // 000000003304: 7E980280
	v_mov_b32_e32 v141, 0                                      // 000000003308: 7F1A0280
	v_mov_b32_e32 v77, 0                                       // 00000000330C: 7E9A0280
	v_mov_b32_e32 v142, 0                                      // 000000003310: 7F1C0280
	v_mov_b32_e32 v78, 0                                       // 000000003314: 7E9C0280
	v_mov_b32_e32 v143, 0                                      // 000000003318: 7F1E0280
	v_mov_b32_e32 v79, 0                                       // 00000000331C: 7E9E0280
	v_mov_b32_e32 v144, 0                                      // 000000003320: 7F200280
	v_mov_b32_e32 v80, 0                                       // 000000003324: 7EA00280
	v_mov_b32_e32 v145, 0                                      // 000000003328: 7F220280
	v_mov_b32_e32 v81, 0                                       // 00000000332C: 7EA20280
	v_mov_b32_e32 v146, 0                                      // 000000003330: 7F240280
	v_mov_b32_e32 v82, 0                                       // 000000003334: 7EA40280
	v_mov_b32_e32 v147, 0                                      // 000000003338: 7F260280
	v_mov_b32_e32 v83, 0                                       // 00000000333C: 7EA60280
	v_mov_b32_e32 v148, 0                                      // 000000003340: 7F280280
	v_mov_b32_e32 v84, 0                                       // 000000003344: 7EA80280
	v_mov_b32_e32 v149, 0                                      // 000000003348: 7F2A0280
	v_mov_b32_e32 v85, 0                                       // 00000000334C: 7EAA0280
	v_mov_b32_e32 v150, 0                                      // 000000003350: 7F2C0280
	v_mov_b32_e32 v86, 0                                       // 000000003354: 7EAC0280
	v_mov_b32_e32 v151, 0                                      // 000000003358: 7F2E0280
	v_mov_b32_e32 v87, 0                                       // 00000000335C: 7EAE0280
	v_mov_b32_e32 v152, 0                                      // 000000003360: 7F300280
	v_mov_b32_e32 v88, 0                                       // 000000003364: 7EB00280
	v_mov_b32_e32 v153, 0                                      // 000000003368: 7F320280
	v_mov_b32_e32 v89, 0                                       // 00000000336C: 7EB20280
	v_mov_b32_e32 v154, 0                                      // 000000003370: 7F340280
	v_mov_b32_e32 v90, 0                                       // 000000003374: 7EB40280
	v_mov_b32_e32 v155, 0                                      // 000000003378: 7F360280
	v_mov_b32_e32 v91, 0                                       // 00000000337C: 7EB60280
	v_mov_b32_e32 v156, 0                                      // 000000003380: 7F380280
	v_mov_b32_e32 v92, 0                                       // 000000003384: 7EB80280
	v_mov_b32_e32 v157, 0                                      // 000000003388: 7F3A0280
	v_mov_b32_e32 v93, 0                                       // 00000000338C: 7EBA0280
	v_mov_b32_e32 v158, 0                                      // 000000003390: 7F3C0280
	v_mov_b32_e32 v94, 0                                       // 000000003394: 7EBC0280
	v_mov_b32_e32 v159, 0                                      // 000000003398: 7F3E0280
	v_mov_b32_e32 v95, 0                                       // 00000000339C: 7EBE0280
	v_mov_b32_e32 v160, 0                                      // 0000000033A0: 7F400280
	v_mov_b32_e32 v96, 0                                       // 0000000033A4: 7EC00280
	v_mov_b32_e32 v161, 0                                      // 0000000033A8: 7F420280
	v_mov_b32_e32 v97, 0                                       // 0000000033AC: 7EC20280
	v_mov_b32_e32 v162, 0                                      // 0000000033B0: 7F440280
	v_mov_b32_e32 v98, 0                                       // 0000000033B4: 7EC40280
	v_mov_b32_e32 v163, 0                                      // 0000000033B8: 7F460280
	v_mov_b32_e32 v99, 0                                       // 0000000033BC: 7EC60280
	v_mov_b32_e32 v164, 0                                      // 0000000033C0: 7F480280
	v_mov_b32_e32 v100, 0                                      // 0000000033C4: 7EC80280
	v_mov_b32_e32 v165, 0                                      // 0000000033C8: 7F4A0280
	v_mov_b32_e32 v101, 0                                      // 0000000033CC: 7ECA0280
	v_mov_b32_e32 v166, 0                                      // 0000000033D0: 7F4C0280
	v_mov_b32_e32 v102, 0                                      // 0000000033D4: 7ECC0280
	v_mov_b32_e32 v167, 0                                      // 0000000033D8: 7F4E0280
	v_mov_b32_e32 v103, 0                                      // 0000000033DC: 7ECE0280
	v_mov_b32_e32 v168, 0                                      // 0000000033E0: 7F500280
	v_mov_b32_e32 v104, 0                                      // 0000000033E4: 7ED00280
	v_mov_b32_e32 v169, 0                                      // 0000000033E8: 7F520280
	v_mov_b32_e32 v105, 0                                      // 0000000033EC: 7ED20280
	v_mov_b32_e32 v170, 0                                      // 0000000033F0: 7F540280
	v_mov_b32_e32 v106, 0                                      // 0000000033F4: 7ED40280
	v_mov_b32_e32 v171, 0                                      // 0000000033F8: 7F560280
	v_mov_b32_e32 v107, 0                                      // 0000000033FC: 7ED60280
	v_mov_b32_e32 v172, 0                                      // 000000003400: 7F580280
	v_mov_b32_e32 v108, 0                                      // 000000003404: 7ED80280
	v_mov_b32_e32 v173, 0                                      // 000000003408: 7F5A0280
	v_mov_b32_e32 v109, 0                                      // 00000000340C: 7EDA0280
	v_mov_b32_e32 v174, 0                                      // 000000003410: 7F5C0280
	v_mov_b32_e32 v110, 0                                      // 000000003414: 7EDC0280
	v_mov_b32_e32 v175, 0                                      // 000000003418: 7F5E0280
	v_mov_b32_e32 v111, 0                                      // 00000000341C: 7EDE0280
	v_mov_b32_e32 v176, 0                                      // 000000003420: 7F600280
	v_mov_b32_e32 v112, 0                                      // 000000003424: 7EE00280
	v_mov_b32_e32 v177, 0                                      // 000000003428: 7F620280
	v_mov_b32_e32 v113, 0                                      // 00000000342C: 7EE20280
	v_mov_b32_e32 v178, 0                                      // 000000003430: 7F640280
	v_mov_b32_e32 v114, 0                                      // 000000003434: 7EE40280
	v_mov_b32_e32 v179, 0                                      // 000000003438: 7F660280
	v_mov_b32_e32 v115, 0                                      // 00000000343C: 7EE60280
	v_mov_b32_e32 v180, 0                                      // 000000003440: 7F680280
	v_mov_b32_e32 v116, 0                                      // 000000003444: 7EE80280
	v_mov_b32_e32 v181, 0                                      // 000000003448: 7F6A0280
	v_mov_b32_e32 v117, 0                                      // 00000000344C: 7EEA0280
	v_mov_b32_e32 v182, 0                                      // 000000003450: 7F6C0280
	v_mov_b32_e32 v118, 0                                      // 000000003454: 7EEC0280
	v_mov_b32_e32 v183, 0                                      // 000000003458: 7F6E0280
	v_mov_b32_e32 v119, 0                                      // 00000000345C: 7EEE0280
	v_mov_b32_e32 v184, 0                                      // 000000003460: 7F700280
	v_mov_b32_e32 v120, 0                                      // 000000003464: 7EF00280
	v_mov_b32_e32 v185, 0                                      // 000000003468: 7F720280
	v_mov_b32_e32 v121, 0                                      // 00000000346C: 7EF20280
	v_mov_b32_e32 v186, 0                                      // 000000003470: 7F740280
	v_mov_b32_e32 v122, 0                                      // 000000003474: 7EF40280
	v_mov_b32_e32 v187, 0                                      // 000000003478: 7F760280
	v_mov_b32_e32 v123, 0                                      // 00000000347C: 7EF60280
	v_mov_b32_e32 v188, 0                                      // 000000003480: 7F780280
	v_mov_b32_e32 v124, 0                                      // 000000003484: 7EF80280
	v_mov_b32_e32 v189, 0                                      // 000000003488: 7F7A0280
	v_mov_b32_e32 v125, 0                                      // 00000000348C: 7EFA0280
	v_mov_b32_e32 v190, 0                                      // 000000003490: 7F7C0280
	v_mov_b32_e32 v126, 0                                      // 000000003494: 7EFC0280
	v_mov_b32_e32 v191, 0                                      // 000000003498: 7F7E0280
	v_mov_b32_e32 v127, 0                                      // 00000000349C: 7EFE0280
	v_lshrrev_b32_e32 v52, 4, v0                               // 0000000034A0: 20680084
	v_mul_i32_i24_e32 v3, 34, v52                              // 0000000034A4: 0C0668A2
	v_and_b32_e32 v52, 15, v0                                  // 0000000034A8: 2668008F
	v_mul_i32_i24_e32 v53, 2, v52                              // 0000000034AC: 0C6A6882
	v_add_u32_e32 v3, v53, v3                                  // 0000000034B0: 68060735
	s_mul_i32 s60, s7, 0x88                                    // 0000000034B4: 923CFF07 00000088
	v_add_u32_e32 v3, s60, v3                                  // 0000000034BC: 6806063C
	v_lshlrev_b32_e32 v3, 2, v3                                // 0000000034C0: 24060682
	v_lshrrev_b32_e32 v52, 1, v0                               // 0000000034C4: 20680081
	v_mul_i32_i24_e32 v4, 34, v52                              // 0000000034C8: 0C0868A2
	v_and_b32_e32 v53, 1, v0                                   // 0000000034CC: 266A0081
	v_add_u32_e32 v4, v53, v4                                  // 0000000034D0: 68080935
	s_mul_i32 s60, s7, 2                                       // 0000000034D4: 923C8207
	v_add_u32_e32 v4, s60, v4                                  // 0000000034D8: 6808083C
	v_lshlrev_b32_e32 v4, 2, v4                                // 0000000034DC: 24080882
	s_waitcnt vmcnt(16)                                        // 0000000034E0: BF8C4F70
	s_barrier                                                  // 0000000034E4: BF8A0000
	ds_read_b128 v[192:195], v2                                // 0000000034E8: D9FE0000 C0000002
	ds_read_b128 v[196:199], v2 offset:16                      // 0000000034F0: D9FE0010 C4000002
	ds_read_b128 v[200:203], v2 offset:128                     // 0000000034F8: D9FE0080 C8000002
	ds_read_b128 v[204:207], v2 offset:144                     // 000000003500: D9FE0090 CC000002
	ds_read_b128 v[208:211], v2 offset:1024                    // 000000003508: D9FE0400 D0000002
	ds_read_b128 v[212:215], v2 offset:1040                    // 000000003510: D9FE0410 D4000002
	ds_read_b128 v[216:219], v2 offset:1152                    // 000000003518: D9FE0480 D8000002
	ds_read_b128 v[220:223], v2 offset:1168                    // 000000003520: D9FE0490 DC000002

0000000000003528 <label_028A>:
	s_waitcnt vmcnt(12) lgkmcnt(0)                             // 000000003528: BF8C007C
	s_barrier                                                  // 00000000352C: BF8A0000
	v_accvgpr_read_b32 v52, a64                                // 000000003530: D3D84034 18000140
	v_cvt_off_f32_i4_e32 v53, v52                              // 000000003538: 7E6A1D34
	v_cvt_off_f32_i4_sdwa v54, v52 dst_sel:DWORD dst_unused:UNUSED_PRESERVE src0_sel:BYTE_2// 00000000353C: 7E6C1CF9 00021634
	v_cvt_pk_fp8_f32 v56, v53, v54                             // 000000003544: D2A20038 00026D35
	v_cvt_off_f32_i4_sdwa v53, v52 dst_sel:DWORD dst_unused:UNUSED_PRESERVE src0_sel:BYTE_1// 00000000354C: 7E6A1CF9 00011634
	v_cvt_off_f32_i4_sdwa v54, v52 dst_sel:DWORD dst_unused:UNUSED_PRESERVE src0_sel:BYTE_3// 000000003554: 7E6C1CF9 00031634
	v_cvt_pk_fp8_f32 v57, v53, v54                             // 00000000355C: D2A20039 00026D35
	v_lshrrev_b32_e32 v55, 4, v52                              // 000000003564: 206E6884
	v_cvt_off_f32_i4_e32 v53, v55                              // 000000003568: 7E6A1D37
	v_cvt_off_f32_i4_sdwa v54, v55 dst_sel:DWORD dst_unused:UNUSED_PRESERVE src0_sel:BYTE_2// 00000000356C: 7E6C1CF9 00021637
	v_cvt_pk_fp8_f32 v56, v53, v54 op_sel:[0,0,1]              // 000000003574: D2A24038 00026D35
	v_cvt_off_f32_i4_sdwa v53, v55 dst_sel:DWORD dst_unused:UNUSED_PRESERVE src0_sel:BYTE_1// 00000000357C: 7E6A1CF9 00011637
	v_cvt_off_f32_i4_sdwa v54, v55 dst_sel:DWORD dst_unused:UNUSED_PRESERVE src0_sel:BYTE_3// 000000003584: 7E6C1CF9 00031637
	v_cvt_pk_fp8_f32 v57, v53, v54 op_sel:[0,0,1]              // 00000000358C: D2A24039 00026D35
	v_accvgpr_write_b32 a0, v56                                // 000000003594: D3D94000 18000138
	v_accvgpr_write_b32 a1, v57                                // 00000000359C: D3D94001 18000139
	s_nop 3                                                    // 0000000035A4: BF800003
	v_mfma_f32_16x16x32_fp8_fp8 v[128:131], a[0:1], v[192:193], v[128:131]// 0000000035A8: D3F30080 0E038100
	v_accvgpr_read_b32 v52, a65                                // 0000000035B0: D3D84034 18000141
	v_cvt_off_f32_i4_e32 v53, v52                              // 0000000035B8: 7E6A1D34
	v_cvt_off_f32_i4_sdwa v54, v52 dst_sel:DWORD dst_unused:UNUSED_PRESERVE src0_sel:BYTE_2// 0000000035BC: 7E6C1CF9 00021634
	v_cvt_pk_fp8_f32 v56, v53, v54                             // 0000000035C4: D2A20038 00026D35
	v_cvt_off_f32_i4_sdwa v53, v52 dst_sel:DWORD dst_unused:UNUSED_PRESERVE src0_sel:BYTE_1// 0000000035CC: 7E6A1CF9 00011634
	v_cvt_off_f32_i4_sdwa v54, v52 dst_sel:DWORD dst_unused:UNUSED_PRESERVE src0_sel:BYTE_3// 0000000035D4: 7E6C1CF9 00031634
	v_cvt_pk_fp8_f32 v57, v53, v54                             // 0000000035DC: D2A20039 00026D35
	v_lshrrev_b32_e32 v55, 4, v52                              // 0000000035E4: 206E6884
	v_cvt_off_f32_i4_e32 v53, v55                              // 0000000035E8: 7E6A1D37
	v_cvt_off_f32_i4_sdwa v54, v55 dst_sel:DWORD dst_unused:UNUSED_PRESERVE src0_sel:BYTE_2// 0000000035EC: 7E6C1CF9 00021637
	v_cvt_pk_fp8_f32 v56, v53, v54 op_sel:[0,0,1]              // 0000000035F4: D2A24038 00026D35
	v_cvt_off_f32_i4_sdwa v53, v55 dst_sel:DWORD dst_unused:UNUSED_PRESERVE src0_sel:BYTE_1// 0000000035FC: 7E6A1CF9 00011637
	v_cvt_off_f32_i4_sdwa v54, v55 dst_sel:DWORD dst_unused:UNUSED_PRESERVE src0_sel:BYTE_3// 000000003604: 7E6C1CF9 00031637
	v_cvt_pk_fp8_f32 v57, v53, v54 op_sel:[0,0,1]              // 00000000360C: D2A24039 00026D35
	v_accvgpr_write_b32 a2, v56                                // 000000003614: D3D94002 18000138
	v_accvgpr_write_b32 a3, v57                                // 00000000361C: D3D94003 18000139
	s_nop 3                                                    // 000000003624: BF800003
	v_mfma_f32_16x16x32_fp8_fp8 v[128:131], a[2:3], v[194:195], v[128:131]// 000000003628: D3F30080 0E038502
	buffer_load_dwordx4 a[192:195], v34, s[92:95], 0 offen     // 000000003630: E05C1000 8097C022
	v_accvgpr_read_b32 v52, a66                                // 000000003638: D3D84034 18000142
	v_cvt_off_f32_i4_e32 v53, v52                              // 000000003640: 7E6A1D34
	v_cvt_off_f32_i4_sdwa v54, v52 dst_sel:DWORD dst_unused:UNUSED_PRESERVE src0_sel:BYTE_2// 000000003644: 7E6C1CF9 00021634
	v_cvt_pk_fp8_f32 v56, v53, v54                             // 00000000364C: D2A20038 00026D35
	v_cvt_off_f32_i4_sdwa v53, v52 dst_sel:DWORD dst_unused:UNUSED_PRESERVE src0_sel:BYTE_1// 000000003654: 7E6A1CF9 00011634
	v_cvt_off_f32_i4_sdwa v54, v52 dst_sel:DWORD dst_unused:UNUSED_PRESERVE src0_sel:BYTE_3// 00000000365C: 7E6C1CF9 00031634
	v_cvt_pk_fp8_f32 v57, v53, v54                             // 000000003664: D2A20039 00026D35
	v_lshrrev_b32_e32 v55, 4, v52                              // 00000000366C: 206E6884
	v_cvt_off_f32_i4_e32 v53, v55                              // 000000003670: 7E6A1D37
	v_cvt_off_f32_i4_sdwa v54, v55 dst_sel:DWORD dst_unused:UNUSED_PRESERVE src0_sel:BYTE_2// 000000003674: 7E6C1CF9 00021637
	v_cvt_pk_fp8_f32 v56, v53, v54 op_sel:[0,0,1]              // 00000000367C: D2A24038 00026D35
	v_cvt_off_f32_i4_sdwa v53, v55 dst_sel:DWORD dst_unused:UNUSED_PRESERVE src0_sel:BYTE_1// 000000003684: 7E6A1CF9 00011637
	v_cvt_off_f32_i4_sdwa v54, v55 dst_sel:DWORD dst_unused:UNUSED_PRESERVE src0_sel:BYTE_3// 00000000368C: 7E6C1CF9 00031637
	v_cvt_pk_fp8_f32 v57, v53, v54 op_sel:[0,0,1]              // 000000003694: D2A24039 00026D35
	v_accvgpr_write_b32 a4, v56                                // 00000000369C: D3D94004 18000138
	v_accvgpr_write_b32 a5, v57                                // 0000000036A4: D3D94005 18000139
	s_nop 3                                                    // 0000000036AC: BF800003
	v_mfma_f32_16x16x32_fp8_fp8 v[128:131], a[4:5], v[196:197], v[128:131]// 0000000036B0: D3F30080 0E038904
	v_accvgpr_read_b32 v52, a67                                // 0000000036B8: D3D84034 18000143
	v_cvt_off_f32_i4_e32 v53, v52                              // 0000000036C0: 7E6A1D34
	v_cvt_off_f32_i4_sdwa v54, v52 dst_sel:DWORD dst_unused:UNUSED_PRESERVE src0_sel:BYTE_2// 0000000036C4: 7E6C1CF9 00021634
	v_cvt_pk_fp8_f32 v56, v53, v54                             // 0000000036CC: D2A20038 00026D35
	v_cvt_off_f32_i4_sdwa v53, v52 dst_sel:DWORD dst_unused:UNUSED_PRESERVE src0_sel:BYTE_1// 0000000036D4: 7E6A1CF9 00011634
	v_cvt_off_f32_i4_sdwa v54, v52 dst_sel:DWORD dst_unused:UNUSED_PRESERVE src0_sel:BYTE_3// 0000000036DC: 7E6C1CF9 00031634
	v_cvt_pk_fp8_f32 v57, v53, v54                             // 0000000036E4: D2A20039 00026D35
	v_lshrrev_b32_e32 v55, 4, v52                              // 0000000036EC: 206E6884
	v_cvt_off_f32_i4_e32 v53, v55                              // 0000000036F0: 7E6A1D37
	v_cvt_off_f32_i4_sdwa v54, v55 dst_sel:DWORD dst_unused:UNUSED_PRESERVE src0_sel:BYTE_2// 0000000036F4: 7E6C1CF9 00021637
	v_cvt_pk_fp8_f32 v56, v53, v54 op_sel:[0,0,1]              // 0000000036FC: D2A24038 00026D35
	v_cvt_off_f32_i4_sdwa v53, v55 dst_sel:DWORD dst_unused:UNUSED_PRESERVE src0_sel:BYTE_1// 000000003704: 7E6A1CF9 00011637
	v_cvt_off_f32_i4_sdwa v54, v55 dst_sel:DWORD dst_unused:UNUSED_PRESERVE src0_sel:BYTE_3// 00000000370C: 7E6C1CF9 00031637
	v_cvt_pk_fp8_f32 v57, v53, v54 op_sel:[0,0,1]              // 000000003714: D2A24039 00026D35
	v_accvgpr_write_b32 a6, v56                                // 00000000371C: D3D94006 18000138
	v_accvgpr_write_b32 a7, v57                                // 000000003724: D3D94007 18000139
	s_nop 3                                                    // 00000000372C: BF800003
	v_mfma_f32_16x16x32_fp8_fp8 v[128:131], a[6:7], v[198:199], v[128:131]// 000000003730: D3F30080 0E038D06
	buffer_load_dword v26, s[20:23], 0 offen lds               // 000000003738: E0511000 8005001A
	s_add_u32 m0, 0x100, s51                                   // 000000003740: 807C33FF 00000100
	v_accvgpr_read_b32 v52, a68                                // 000000003748: D3D84034 18000144
	v_cvt_off_f32_i4_e32 v53, v52                              // 000000003750: 7E6A1D34
	v_cvt_off_f32_i4_sdwa v54, v52 dst_sel:DWORD dst_unused:UNUSED_PRESERVE src0_sel:BYTE_2// 000000003754: 7E6C1CF9 00021634
	v_cvt_pk_fp8_f32 v56, v53, v54                             // 00000000375C: D2A20038 00026D35
	v_cvt_off_f32_i4_sdwa v53, v52 dst_sel:DWORD dst_unused:UNUSED_PRESERVE src0_sel:BYTE_1// 000000003764: 7E6A1CF9 00011634
	v_cvt_off_f32_i4_sdwa v54, v52 dst_sel:DWORD dst_unused:UNUSED_PRESERVE src0_sel:BYTE_3// 00000000376C: 7E6C1CF9 00031634
	v_cvt_pk_fp8_f32 v57, v53, v54                             // 000000003774: D2A20039 00026D35
	v_lshrrev_b32_e32 v55, 4, v52                              // 00000000377C: 206E6884
	v_cvt_off_f32_i4_e32 v53, v55                              // 000000003780: 7E6A1D37
	v_cvt_off_f32_i4_sdwa v54, v55 dst_sel:DWORD dst_unused:UNUSED_PRESERVE src0_sel:BYTE_2// 000000003784: 7E6C1CF9 00021637
	v_cvt_pk_fp8_f32 v56, v53, v54 op_sel:[0,0,1]              // 00000000378C: D2A24038 00026D35
	v_cvt_off_f32_i4_sdwa v53, v55 dst_sel:DWORD dst_unused:UNUSED_PRESERVE src0_sel:BYTE_1// 000000003794: 7E6A1CF9 00011637
	v_cvt_off_f32_i4_sdwa v54, v55 dst_sel:DWORD dst_unused:UNUSED_PRESERVE src0_sel:BYTE_3// 00000000379C: 7E6C1CF9 00031637
	v_cvt_pk_fp8_f32 v57, v53, v54 op_sel:[0,0,1]              // 0000000037A4: D2A24039 00026D35
	v_accvgpr_write_b32 a8, v56                                // 0000000037AC: D3D94008 18000138
	v_accvgpr_write_b32 a9, v57                                // 0000000037B4: D3D94009 18000139
	s_nop 3                                                    // 0000000037BC: BF800003
	v_mfma_f32_16x16x32_fp8_fp8 v[128:131], a[8:9], v[200:201], v[128:131]// 0000000037C0: D3F30080 0E039108
	v_accvgpr_read_b32 v52, a69                                // 0000000037C8: D3D84034 18000145
	v_cvt_off_f32_i4_e32 v53, v52                              // 0000000037D0: 7E6A1D34
	v_cvt_off_f32_i4_sdwa v54, v52 dst_sel:DWORD dst_unused:UNUSED_PRESERVE src0_sel:BYTE_2// 0000000037D4: 7E6C1CF9 00021634
	v_cvt_pk_fp8_f32 v56, v53, v54                             // 0000000037DC: D2A20038 00026D35
	v_cvt_off_f32_i4_sdwa v53, v52 dst_sel:DWORD dst_unused:UNUSED_PRESERVE src0_sel:BYTE_1// 0000000037E4: 7E6A1CF9 00011634
	v_cvt_off_f32_i4_sdwa v54, v52 dst_sel:DWORD dst_unused:UNUSED_PRESERVE src0_sel:BYTE_3// 0000000037EC: 7E6C1CF9 00031634
	v_cvt_pk_fp8_f32 v57, v53, v54                             // 0000000037F4: D2A20039 00026D35
	v_lshrrev_b32_e32 v55, 4, v52                              // 0000000037FC: 206E6884
	v_cvt_off_f32_i4_e32 v53, v55                              // 000000003800: 7E6A1D37
	v_cvt_off_f32_i4_sdwa v54, v55 dst_sel:DWORD dst_unused:UNUSED_PRESERVE src0_sel:BYTE_2// 000000003804: 7E6C1CF9 00021637
	v_cvt_pk_fp8_f32 v56, v53, v54 op_sel:[0,0,1]              // 00000000380C: D2A24038 00026D35
	v_cvt_off_f32_i4_sdwa v53, v55 dst_sel:DWORD dst_unused:UNUSED_PRESERVE src0_sel:BYTE_1// 000000003814: 7E6A1CF9 00011637
	v_cvt_off_f32_i4_sdwa v54, v55 dst_sel:DWORD dst_unused:UNUSED_PRESERVE src0_sel:BYTE_3// 00000000381C: 7E6C1CF9 00031637
	v_cvt_pk_fp8_f32 v57, v53, v54 op_sel:[0,0,1]              // 000000003824: D2A24039 00026D35
	v_accvgpr_write_b32 a10, v56                               // 00000000382C: D3D9400A 18000138
	v_accvgpr_write_b32 a11, v57                               // 000000003834: D3D9400B 18000139
	s_nop 3                                                    // 00000000383C: BF800003
	v_mfma_f32_16x16x32_fp8_fp8 v[128:131], a[10:11], v[202:203], v[128:131]// 000000003840: D3F30080 0E03950A
	v_accvgpr_read_b32 v52, a70                                // 000000003848: D3D84034 18000146
	v_cvt_off_f32_i4_e32 v53, v52                              // 000000003850: 7E6A1D34
	v_cvt_off_f32_i4_sdwa v54, v52 dst_sel:DWORD dst_unused:UNUSED_PRESERVE src0_sel:BYTE_2// 000000003854: 7E6C1CF9 00021634
	v_cvt_pk_fp8_f32 v56, v53, v54                             // 00000000385C: D2A20038 00026D35
	v_cvt_off_f32_i4_sdwa v53, v52 dst_sel:DWORD dst_unused:UNUSED_PRESERVE src0_sel:BYTE_1// 000000003864: 7E6A1CF9 00011634
	v_cvt_off_f32_i4_sdwa v54, v52 dst_sel:DWORD dst_unused:UNUSED_PRESERVE src0_sel:BYTE_3// 00000000386C: 7E6C1CF9 00031634
	v_cvt_pk_fp8_f32 v57, v53, v54                             // 000000003874: D2A20039 00026D35
	v_lshrrev_b32_e32 v55, 4, v52                              // 00000000387C: 206E6884
	v_cvt_off_f32_i4_e32 v53, v55                              // 000000003880: 7E6A1D37
	v_cvt_off_f32_i4_sdwa v54, v55 dst_sel:DWORD dst_unused:UNUSED_PRESERVE src0_sel:BYTE_2// 000000003884: 7E6C1CF9 00021637
	v_cvt_pk_fp8_f32 v56, v53, v54 op_sel:[0,0,1]              // 00000000388C: D2A24038 00026D35
	v_cvt_off_f32_i4_sdwa v53, v55 dst_sel:DWORD dst_unused:UNUSED_PRESERVE src0_sel:BYTE_1// 000000003894: 7E6A1CF9 00011637
	v_cvt_off_f32_i4_sdwa v54, v55 dst_sel:DWORD dst_unused:UNUSED_PRESERVE src0_sel:BYTE_3// 00000000389C: 7E6C1CF9 00031637
	v_cvt_pk_fp8_f32 v57, v53, v54 op_sel:[0,0,1]              // 0000000038A4: D2A24039 00026D35
	v_accvgpr_write_b32 a12, v56                               // 0000000038AC: D3D9400C 18000138
	v_accvgpr_write_b32 a13, v57                               // 0000000038B4: D3D9400D 18000139
	s_nop 3                                                    // 0000000038BC: BF800003
	v_mfma_f32_16x16x32_fp8_fp8 v[128:131], a[12:13], v[204:205], v[128:131]// 0000000038C0: D3F30080 0E03990C
	v_accvgpr_read_b32 v52, a71                                // 0000000038C8: D3D84034 18000147
	v_cvt_off_f32_i4_e32 v53, v52                              // 0000000038D0: 7E6A1D34
	v_cvt_off_f32_i4_sdwa v54, v52 dst_sel:DWORD dst_unused:UNUSED_PRESERVE src0_sel:BYTE_2// 0000000038D4: 7E6C1CF9 00021634
	v_cvt_pk_fp8_f32 v56, v53, v54                             // 0000000038DC: D2A20038 00026D35
	v_cvt_off_f32_i4_sdwa v53, v52 dst_sel:DWORD dst_unused:UNUSED_PRESERVE src0_sel:BYTE_1// 0000000038E4: 7E6A1CF9 00011634
	v_cvt_off_f32_i4_sdwa v54, v52 dst_sel:DWORD dst_unused:UNUSED_PRESERVE src0_sel:BYTE_3// 0000000038EC: 7E6C1CF9 00031634
	v_cvt_pk_fp8_f32 v57, v53, v54                             // 0000000038F4: D2A20039 00026D35
	v_lshrrev_b32_e32 v55, 4, v52                              // 0000000038FC: 206E6884
	v_cvt_off_f32_i4_e32 v53, v55                              // 000000003900: 7E6A1D37
	v_cvt_off_f32_i4_sdwa v54, v55 dst_sel:DWORD dst_unused:UNUSED_PRESERVE src0_sel:BYTE_2// 000000003904: 7E6C1CF9 00021637
	v_cvt_pk_fp8_f32 v56, v53, v54 op_sel:[0,0,1]              // 00000000390C: D2A24038 00026D35
	v_cvt_off_f32_i4_sdwa v53, v55 dst_sel:DWORD dst_unused:UNUSED_PRESERVE src0_sel:BYTE_1// 000000003914: 7E6A1CF9 00011637
	v_cvt_off_f32_i4_sdwa v54, v55 dst_sel:DWORD dst_unused:UNUSED_PRESERVE src0_sel:BYTE_3// 00000000391C: 7E6C1CF9 00031637
	v_cvt_pk_fp8_f32 v57, v53, v54 op_sel:[0,0,1]              // 000000003924: D2A24039 00026D35
	v_accvgpr_write_b32 a14, v56                               // 00000000392C: D3D9400E 18000138
	v_accvgpr_write_b32 a15, v57                               // 000000003934: D3D9400F 18000139
	s_nop 3                                                    // 00000000393C: BF800003
	v_mfma_f32_16x16x32_fp8_fp8 v[128:131], a[14:15], v[206:207], v[128:131]// 000000003940: D3F30080 0E039D0E
	buffer_load_dword v27, s[20:23], 0 offen lds               // 000000003948: E0511000 8005001B
	s_add_u32 m0, 0x200, s51                                   // 000000003950: 807C33FF 00000200
	v_mfma_f32_16x16x32_fp8_fp8 v[132:135], a[0:1], v[208:209], v[132:135]// 000000003958: D3F30084 0E13A100
	v_mfma_f32_16x16x32_fp8_fp8 v[132:135], a[2:3], v[210:211], v[132:135]// 000000003960: D3F30084 0E13A502
	buffer_load_dwordx4 a[196:199], v34, s[92:95], 0 offen offset:1024// 000000003968: E05C1400 8097C422
	v_mfma_f32_16x16x32_fp8_fp8 v[132:135], a[4:5], v[212:213], v[132:135]// 000000003970: D3F30084 0E13A904
	v_mfma_f32_16x16x32_fp8_fp8 v[132:135], a[6:7], v[214:215], v[132:135]// 000000003978: D3F30084 0E13AD06
	buffer_load_dword v28, s[20:23], 0 offen lds               // 000000003980: E0511000 8005001C
	s_add_u32 m0, 0x300, s51                                   // 000000003988: 807C33FF 00000300
	v_mfma_f32_16x16x32_fp8_fp8 v[132:135], a[8:9], v[216:217], v[132:135]// 000000003990: D3F30084 0E13B108
	v_mfma_f32_16x16x32_fp8_fp8 v[132:135], a[10:11], v[218:219], v[132:135]// 000000003998: D3F30084 0E13B50A
	v_mfma_f32_16x16x32_fp8_fp8 v[132:135], a[12:13], v[220:221], v[132:135]// 0000000039A0: D3F30084 0E13B90C
	v_mfma_f32_16x16x32_fp8_fp8 v[132:135], a[14:15], v[222:223], v[132:135]// 0000000039A8: D3F30084 0E13BD0E
	buffer_load_dword v29, s[20:23], 0 offen lds               // 0000000039B0: E0511000 8005001D
	s_add_u32 m0, 0x400, s51                                   // 0000000039B8: 807C33FF 00000400
	v_accvgpr_read_b32 v52, a72                                // 0000000039C0: D3D84034 18000148
	v_cvt_off_f32_i4_e32 v53, v52                              // 0000000039C8: 7E6A1D34
	v_cvt_off_f32_i4_sdwa v54, v52 dst_sel:DWORD dst_unused:UNUSED_PRESERVE src0_sel:BYTE_2// 0000000039CC: 7E6C1CF9 00021634
	v_cvt_pk_fp8_f32 v56, v53, v54                             // 0000000039D4: D2A20038 00026D35
	v_cvt_off_f32_i4_sdwa v53, v52 dst_sel:DWORD dst_unused:UNUSED_PRESERVE src0_sel:BYTE_1// 0000000039DC: 7E6A1CF9 00011634
	v_cvt_off_f32_i4_sdwa v54, v52 dst_sel:DWORD dst_unused:UNUSED_PRESERVE src0_sel:BYTE_3// 0000000039E4: 7E6C1CF9 00031634
	v_cvt_pk_fp8_f32 v57, v53, v54                             // 0000000039EC: D2A20039 00026D35
	v_lshrrev_b32_e32 v55, 4, v52                              // 0000000039F4: 206E6884
	v_cvt_off_f32_i4_e32 v53, v55                              // 0000000039F8: 7E6A1D37
	v_cvt_off_f32_i4_sdwa v54, v55 dst_sel:DWORD dst_unused:UNUSED_PRESERVE src0_sel:BYTE_2// 0000000039FC: 7E6C1CF9 00021637
	v_cvt_pk_fp8_f32 v56, v53, v54 op_sel:[0,0,1]              // 000000003A04: D2A24038 00026D35
	v_cvt_off_f32_i4_sdwa v53, v55 dst_sel:DWORD dst_unused:UNUSED_PRESERVE src0_sel:BYTE_1// 000000003A0C: 7E6A1CF9 00011637
	v_cvt_off_f32_i4_sdwa v54, v55 dst_sel:DWORD dst_unused:UNUSED_PRESERVE src0_sel:BYTE_3// 000000003A14: 7E6C1CF9 00031637
	v_cvt_pk_fp8_f32 v57, v53, v54 op_sel:[0,0,1]              // 000000003A1C: D2A24039 00026D35
	v_accvgpr_write_b32 a16, v56                               // 000000003A24: D3D94010 18000138
	v_accvgpr_write_b32 a17, v57                               // 000000003A2C: D3D94011 18000139
	s_nop 3                                                    // 000000003A34: BF800003
	v_mfma_f32_16x16x32_fp8_fp8 v[136:139], a[16:17], v[192:193], v[136:139]// 000000003A38: D3F30088 0E238110
	v_accvgpr_read_b32 v52, a73                                // 000000003A40: D3D84034 18000149
	v_cvt_off_f32_i4_e32 v53, v52                              // 000000003A48: 7E6A1D34
	v_cvt_off_f32_i4_sdwa v54, v52 dst_sel:DWORD dst_unused:UNUSED_PRESERVE src0_sel:BYTE_2// 000000003A4C: 7E6C1CF9 00021634
	v_cvt_pk_fp8_f32 v56, v53, v54                             // 000000003A54: D2A20038 00026D35
	v_cvt_off_f32_i4_sdwa v53, v52 dst_sel:DWORD dst_unused:UNUSED_PRESERVE src0_sel:BYTE_1// 000000003A5C: 7E6A1CF9 00011634
	v_cvt_off_f32_i4_sdwa v54, v52 dst_sel:DWORD dst_unused:UNUSED_PRESERVE src0_sel:BYTE_3// 000000003A64: 7E6C1CF9 00031634
	v_cvt_pk_fp8_f32 v57, v53, v54                             // 000000003A6C: D2A20039 00026D35
	v_lshrrev_b32_e32 v55, 4, v52                              // 000000003A74: 206E6884
	v_cvt_off_f32_i4_e32 v53, v55                              // 000000003A78: 7E6A1D37
	v_cvt_off_f32_i4_sdwa v54, v55 dst_sel:DWORD dst_unused:UNUSED_PRESERVE src0_sel:BYTE_2// 000000003A7C: 7E6C1CF9 00021637
	v_cvt_pk_fp8_f32 v56, v53, v54 op_sel:[0,0,1]              // 000000003A84: D2A24038 00026D35
	v_cvt_off_f32_i4_sdwa v53, v55 dst_sel:DWORD dst_unused:UNUSED_PRESERVE src0_sel:BYTE_1// 000000003A8C: 7E6A1CF9 00011637
	v_cvt_off_f32_i4_sdwa v54, v55 dst_sel:DWORD dst_unused:UNUSED_PRESERVE src0_sel:BYTE_3// 000000003A94: 7E6C1CF9 00031637
	v_cvt_pk_fp8_f32 v57, v53, v54 op_sel:[0,0,1]              // 000000003A9C: D2A24039 00026D35
	v_accvgpr_write_b32 a18, v56                               // 000000003AA4: D3D94012 18000138
	v_accvgpr_write_b32 a19, v57                               // 000000003AAC: D3D94013 18000139
	s_nop 3                                                    // 000000003AB4: BF800003
	v_mfma_f32_16x16x32_fp8_fp8 v[136:139], a[18:19], v[194:195], v[136:139]// 000000003AB8: D3F30088 0E238512
	buffer_load_dwordx4 a[200:203], v35, s[92:95], 0 offen     // 000000003AC0: E05C1000 8097C823
	v_accvgpr_read_b32 v52, a74                                // 000000003AC8: D3D84034 1800014A
	v_cvt_off_f32_i4_e32 v53, v52                              // 000000003AD0: 7E6A1D34
	v_cvt_off_f32_i4_sdwa v54, v52 dst_sel:DWORD dst_unused:UNUSED_PRESERVE src0_sel:BYTE_2// 000000003AD4: 7E6C1CF9 00021634
	v_cvt_pk_fp8_f32 v56, v53, v54                             // 000000003ADC: D2A20038 00026D35
	v_cvt_off_f32_i4_sdwa v53, v52 dst_sel:DWORD dst_unused:UNUSED_PRESERVE src0_sel:BYTE_1// 000000003AE4: 7E6A1CF9 00011634
	v_cvt_off_f32_i4_sdwa v54, v52 dst_sel:DWORD dst_unused:UNUSED_PRESERVE src0_sel:BYTE_3// 000000003AEC: 7E6C1CF9 00031634
	v_cvt_pk_fp8_f32 v57, v53, v54                             // 000000003AF4: D2A20039 00026D35
	v_lshrrev_b32_e32 v55, 4, v52                              // 000000003AFC: 206E6884
	v_cvt_off_f32_i4_e32 v53, v55                              // 000000003B00: 7E6A1D37
	v_cvt_off_f32_i4_sdwa v54, v55 dst_sel:DWORD dst_unused:UNUSED_PRESERVE src0_sel:BYTE_2// 000000003B04: 7E6C1CF9 00021637
	v_cvt_pk_fp8_f32 v56, v53, v54 op_sel:[0,0,1]              // 000000003B0C: D2A24038 00026D35
	v_cvt_off_f32_i4_sdwa v53, v55 dst_sel:DWORD dst_unused:UNUSED_PRESERVE src0_sel:BYTE_1// 000000003B14: 7E6A1CF9 00011637
	v_cvt_off_f32_i4_sdwa v54, v55 dst_sel:DWORD dst_unused:UNUSED_PRESERVE src0_sel:BYTE_3// 000000003B1C: 7E6C1CF9 00031637
	v_cvt_pk_fp8_f32 v57, v53, v54 op_sel:[0,0,1]              // 000000003B24: D2A24039 00026D35
	v_accvgpr_write_b32 a20, v56                               // 000000003B2C: D3D94014 18000138
	v_accvgpr_write_b32 a21, v57                               // 000000003B34: D3D94015 18000139
	s_nop 3                                                    // 000000003B3C: BF800003
	v_mfma_f32_16x16x32_fp8_fp8 v[136:139], a[20:21], v[196:197], v[136:139]// 000000003B40: D3F30088 0E238914
	v_accvgpr_read_b32 v52, a75                                // 000000003B48: D3D84034 1800014B
	v_cvt_off_f32_i4_e32 v53, v52                              // 000000003B50: 7E6A1D34
	v_cvt_off_f32_i4_sdwa v54, v52 dst_sel:DWORD dst_unused:UNUSED_PRESERVE src0_sel:BYTE_2// 000000003B54: 7E6C1CF9 00021634
	v_cvt_pk_fp8_f32 v56, v53, v54                             // 000000003B5C: D2A20038 00026D35
	v_cvt_off_f32_i4_sdwa v53, v52 dst_sel:DWORD dst_unused:UNUSED_PRESERVE src0_sel:BYTE_1// 000000003B64: 7E6A1CF9 00011634
	v_cvt_off_f32_i4_sdwa v54, v52 dst_sel:DWORD dst_unused:UNUSED_PRESERVE src0_sel:BYTE_3// 000000003B6C: 7E6C1CF9 00031634
	v_cvt_pk_fp8_f32 v57, v53, v54                             // 000000003B74: D2A20039 00026D35
	v_lshrrev_b32_e32 v55, 4, v52                              // 000000003B7C: 206E6884
	v_cvt_off_f32_i4_e32 v53, v55                              // 000000003B80: 7E6A1D37
	v_cvt_off_f32_i4_sdwa v54, v55 dst_sel:DWORD dst_unused:UNUSED_PRESERVE src0_sel:BYTE_2// 000000003B84: 7E6C1CF9 00021637
	v_cvt_pk_fp8_f32 v56, v53, v54 op_sel:[0,0,1]              // 000000003B8C: D2A24038 00026D35
	v_cvt_off_f32_i4_sdwa v53, v55 dst_sel:DWORD dst_unused:UNUSED_PRESERVE src0_sel:BYTE_1// 000000003B94: 7E6A1CF9 00011637
	v_cvt_off_f32_i4_sdwa v54, v55 dst_sel:DWORD dst_unused:UNUSED_PRESERVE src0_sel:BYTE_3// 000000003B9C: 7E6C1CF9 00031637
	v_cvt_pk_fp8_f32 v57, v53, v54 op_sel:[0,0,1]              // 000000003BA4: D2A24039 00026D35
	v_accvgpr_write_b32 a22, v56                               // 000000003BAC: D3D94016 18000138
	v_accvgpr_write_b32 a23, v57                               // 000000003BB4: D3D94017 18000139
	s_nop 3                                                    // 000000003BBC: BF800003
	v_mfma_f32_16x16x32_fp8_fp8 v[136:139], a[22:23], v[198:199], v[136:139]// 000000003BC0: D3F30088 0E238D16
	buffer_load_dword v30, s[20:23], 0 offen lds               // 000000003BC8: E0511000 8005001E
	s_add_u32 m0, 0x500, s51                                   // 000000003BD0: 807C33FF 00000500
	v_accvgpr_read_b32 v52, a76                                // 000000003BD8: D3D84034 1800014C
	v_cvt_off_f32_i4_e32 v53, v52                              // 000000003BE0: 7E6A1D34
	v_cvt_off_f32_i4_sdwa v54, v52 dst_sel:DWORD dst_unused:UNUSED_PRESERVE src0_sel:BYTE_2// 000000003BE4: 7E6C1CF9 00021634
	v_cvt_pk_fp8_f32 v56, v53, v54                             // 000000003BEC: D2A20038 00026D35
	v_cvt_off_f32_i4_sdwa v53, v52 dst_sel:DWORD dst_unused:UNUSED_PRESERVE src0_sel:BYTE_1// 000000003BF4: 7E6A1CF9 00011634
	v_cvt_off_f32_i4_sdwa v54, v52 dst_sel:DWORD dst_unused:UNUSED_PRESERVE src0_sel:BYTE_3// 000000003BFC: 7E6C1CF9 00031634
	v_cvt_pk_fp8_f32 v57, v53, v54                             // 000000003C04: D2A20039 00026D35
	v_lshrrev_b32_e32 v55, 4, v52                              // 000000003C0C: 206E6884
	v_cvt_off_f32_i4_e32 v53, v55                              // 000000003C10: 7E6A1D37
	v_cvt_off_f32_i4_sdwa v54, v55 dst_sel:DWORD dst_unused:UNUSED_PRESERVE src0_sel:BYTE_2// 000000003C14: 7E6C1CF9 00021637
	v_cvt_pk_fp8_f32 v56, v53, v54 op_sel:[0,0,1]              // 000000003C1C: D2A24038 00026D35
	v_cvt_off_f32_i4_sdwa v53, v55 dst_sel:DWORD dst_unused:UNUSED_PRESERVE src0_sel:BYTE_1// 000000003C24: 7E6A1CF9 00011637
	v_cvt_off_f32_i4_sdwa v54, v55 dst_sel:DWORD dst_unused:UNUSED_PRESERVE src0_sel:BYTE_3// 000000003C2C: 7E6C1CF9 00031637
	v_cvt_pk_fp8_f32 v57, v53, v54 op_sel:[0,0,1]              // 000000003C34: D2A24039 00026D35
	v_accvgpr_write_b32 a24, v56                               // 000000003C3C: D3D94018 18000138
	v_accvgpr_write_b32 a25, v57                               // 000000003C44: D3D94019 18000139
	s_nop 3                                                    // 000000003C4C: BF800003
	v_mfma_f32_16x16x32_fp8_fp8 v[136:139], a[24:25], v[200:201], v[136:139]// 000000003C50: D3F30088 0E239118
	v_accvgpr_read_b32 v52, a77                                // 000000003C58: D3D84034 1800014D
	v_cvt_off_f32_i4_e32 v53, v52                              // 000000003C60: 7E6A1D34
	v_cvt_off_f32_i4_sdwa v54, v52 dst_sel:DWORD dst_unused:UNUSED_PRESERVE src0_sel:BYTE_2// 000000003C64: 7E6C1CF9 00021634
	v_cvt_pk_fp8_f32 v56, v53, v54                             // 000000003C6C: D2A20038 00026D35
	v_cvt_off_f32_i4_sdwa v53, v52 dst_sel:DWORD dst_unused:UNUSED_PRESERVE src0_sel:BYTE_1// 000000003C74: 7E6A1CF9 00011634
	v_cvt_off_f32_i4_sdwa v54, v52 dst_sel:DWORD dst_unused:UNUSED_PRESERVE src0_sel:BYTE_3// 000000003C7C: 7E6C1CF9 00031634
	v_cvt_pk_fp8_f32 v57, v53, v54                             // 000000003C84: D2A20039 00026D35
	v_lshrrev_b32_e32 v55, 4, v52                              // 000000003C8C: 206E6884
	v_cvt_off_f32_i4_e32 v53, v55                              // 000000003C90: 7E6A1D37
	v_cvt_off_f32_i4_sdwa v54, v55 dst_sel:DWORD dst_unused:UNUSED_PRESERVE src0_sel:BYTE_2// 000000003C94: 7E6C1CF9 00021637
	v_cvt_pk_fp8_f32 v56, v53, v54 op_sel:[0,0,1]              // 000000003C9C: D2A24038 00026D35
	v_cvt_off_f32_i4_sdwa v53, v55 dst_sel:DWORD dst_unused:UNUSED_PRESERVE src0_sel:BYTE_1// 000000003CA4: 7E6A1CF9 00011637
	v_cvt_off_f32_i4_sdwa v54, v55 dst_sel:DWORD dst_unused:UNUSED_PRESERVE src0_sel:BYTE_3// 000000003CAC: 7E6C1CF9 00031637
	v_cvt_pk_fp8_f32 v57, v53, v54 op_sel:[0,0,1]              // 000000003CB4: D2A24039 00026D35
	v_accvgpr_write_b32 a26, v56                               // 000000003CBC: D3D9401A 18000138
	v_accvgpr_write_b32 a27, v57                               // 000000003CC4: D3D9401B 18000139
	s_nop 3                                                    // 000000003CCC: BF800003
	v_mfma_f32_16x16x32_fp8_fp8 v[136:139], a[26:27], v[202:203], v[136:139]// 000000003CD0: D3F30088 0E23951A
	v_accvgpr_read_b32 v52, a78                                // 000000003CD8: D3D84034 1800014E
	v_cvt_off_f32_i4_e32 v53, v52                              // 000000003CE0: 7E6A1D34
	v_cvt_off_f32_i4_sdwa v54, v52 dst_sel:DWORD dst_unused:UNUSED_PRESERVE src0_sel:BYTE_2// 000000003CE4: 7E6C1CF9 00021634
	v_cvt_pk_fp8_f32 v56, v53, v54                             // 000000003CEC: D2A20038 00026D35
	v_cvt_off_f32_i4_sdwa v53, v52 dst_sel:DWORD dst_unused:UNUSED_PRESERVE src0_sel:BYTE_1// 000000003CF4: 7E6A1CF9 00011634
	v_cvt_off_f32_i4_sdwa v54, v52 dst_sel:DWORD dst_unused:UNUSED_PRESERVE src0_sel:BYTE_3// 000000003CFC: 7E6C1CF9 00031634
	v_cvt_pk_fp8_f32 v57, v53, v54                             // 000000003D04: D2A20039 00026D35
	v_lshrrev_b32_e32 v55, 4, v52                              // 000000003D0C: 206E6884
	v_cvt_off_f32_i4_e32 v53, v55                              // 000000003D10: 7E6A1D37
	v_cvt_off_f32_i4_sdwa v54, v55 dst_sel:DWORD dst_unused:UNUSED_PRESERVE src0_sel:BYTE_2// 000000003D14: 7E6C1CF9 00021637
	v_cvt_pk_fp8_f32 v56, v53, v54 op_sel:[0,0,1]              // 000000003D1C: D2A24038 00026D35
	v_cvt_off_f32_i4_sdwa v53, v55 dst_sel:DWORD dst_unused:UNUSED_PRESERVE src0_sel:BYTE_1// 000000003D24: 7E6A1CF9 00011637
	v_cvt_off_f32_i4_sdwa v54, v55 dst_sel:DWORD dst_unused:UNUSED_PRESERVE src0_sel:BYTE_3// 000000003D2C: 7E6C1CF9 00031637
	v_cvt_pk_fp8_f32 v57, v53, v54 op_sel:[0,0,1]              // 000000003D34: D2A24039 00026D35
	v_accvgpr_write_b32 a28, v56                               // 000000003D3C: D3D9401C 18000138
	v_accvgpr_write_b32 a29, v57                               // 000000003D44: D3D9401D 18000139
	s_nop 3                                                    // 000000003D4C: BF800003
	v_mfma_f32_16x16x32_fp8_fp8 v[136:139], a[28:29], v[204:205], v[136:139]// 000000003D50: D3F30088 0E23991C
	v_accvgpr_read_b32 v52, a79                                // 000000003D58: D3D84034 1800014F
	v_cvt_off_f32_i4_e32 v53, v52                              // 000000003D60: 7E6A1D34
	v_cvt_off_f32_i4_sdwa v54, v52 dst_sel:DWORD dst_unused:UNUSED_PRESERVE src0_sel:BYTE_2// 000000003D64: 7E6C1CF9 00021634
	v_cvt_pk_fp8_f32 v56, v53, v54                             // 000000003D6C: D2A20038 00026D35
	v_cvt_off_f32_i4_sdwa v53, v52 dst_sel:DWORD dst_unused:UNUSED_PRESERVE src0_sel:BYTE_1// 000000003D74: 7E6A1CF9 00011634
	v_cvt_off_f32_i4_sdwa v54, v52 dst_sel:DWORD dst_unused:UNUSED_PRESERVE src0_sel:BYTE_3// 000000003D7C: 7E6C1CF9 00031634
	v_cvt_pk_fp8_f32 v57, v53, v54                             // 000000003D84: D2A20039 00026D35
	v_lshrrev_b32_e32 v55, 4, v52                              // 000000003D8C: 206E6884
	v_cvt_off_f32_i4_e32 v53, v55                              // 000000003D90: 7E6A1D37
	v_cvt_off_f32_i4_sdwa v54, v55 dst_sel:DWORD dst_unused:UNUSED_PRESERVE src0_sel:BYTE_2// 000000003D94: 7E6C1CF9 00021637
	v_cvt_pk_fp8_f32 v56, v53, v54 op_sel:[0,0,1]              // 000000003D9C: D2A24038 00026D35
	v_cvt_off_f32_i4_sdwa v53, v55 dst_sel:DWORD dst_unused:UNUSED_PRESERVE src0_sel:BYTE_1// 000000003DA4: 7E6A1CF9 00011637
	v_cvt_off_f32_i4_sdwa v54, v55 dst_sel:DWORD dst_unused:UNUSED_PRESERVE src0_sel:BYTE_3// 000000003DAC: 7E6C1CF9 00031637
	v_cvt_pk_fp8_f32 v57, v53, v54 op_sel:[0,0,1]              // 000000003DB4: D2A24039 00026D35
	v_accvgpr_write_b32 a30, v56                               // 000000003DBC: D3D9401E 18000138
	v_accvgpr_write_b32 a31, v57                               // 000000003DC4: D3D9401F 18000139
	s_nop 3                                                    // 000000003DCC: BF800003
	v_mfma_f32_16x16x32_fp8_fp8 v[136:139], a[30:31], v[206:207], v[136:139]// 000000003DD0: D3F30088 0E239D1E
	buffer_load_dword v31, s[20:23], 0 offen lds               // 000000003DD8: E0511000 8005001F
	s_add_u32 m0, 0x600, s51                                   // 000000003DE0: 807C33FF 00000600
	v_mfma_f32_16x16x32_fp8_fp8 v[140:143], a[16:17], v[208:209], v[140:143]// 000000003DE8: D3F3008C 0E33A110
	v_mfma_f32_16x16x32_fp8_fp8 v[140:143], a[18:19], v[210:211], v[140:143]// 000000003DF0: D3F3008C 0E33A512
	buffer_load_dwordx4 a[204:207], v35, s[92:95], 0 offen offset:1024// 000000003DF8: E05C1400 8097CC23
	v_mfma_f32_16x16x32_fp8_fp8 v[140:143], a[20:21], v[212:213], v[140:143]// 000000003E00: D3F3008C 0E33A914
	v_mfma_f32_16x16x32_fp8_fp8 v[140:143], a[22:23], v[214:215], v[140:143]// 000000003E08: D3F3008C 0E33AD16
	buffer_load_dword v32, s[20:23], 0 offen lds               // 000000003E10: E0511000 80050020
	s_add_u32 m0, 0x700, s51                                   // 000000003E18: 807C33FF 00000700
	v_mfma_f32_16x16x32_fp8_fp8 v[140:143], a[24:25], v[216:217], v[140:143]// 000000003E20: D3F3008C 0E33B118
	v_mfma_f32_16x16x32_fp8_fp8 v[140:143], a[26:27], v[218:219], v[140:143]// 000000003E28: D3F3008C 0E33B51A
	v_mfma_f32_16x16x32_fp8_fp8 v[140:143], a[28:29], v[220:221], v[140:143]// 000000003E30: D3F3008C 0E33B91C
	v_mfma_f32_16x16x32_fp8_fp8 v[140:143], a[30:31], v[222:223], v[140:143]// 000000003E38: D3F3008C 0E33BD1E
	buffer_load_dword v33, s[20:23], 0 offen lds               // 000000003E40: E0511000 80050021
	s_add_u32 m0, 0, s50                                       // 000000003E48: 807C3280
	s_waitcnt vmcnt(22)                                        // 000000003E4C: BF8C4F76
	v_accvgpr_read_b32 v52, a80                                // 000000003E50: D3D84034 18000150
	v_cvt_off_f32_i4_e32 v53, v52                              // 000000003E58: 7E6A1D34
	v_cvt_off_f32_i4_sdwa v54, v52 dst_sel:DWORD dst_unused:UNUSED_PRESERVE src0_sel:BYTE_2// 000000003E5C: 7E6C1CF9 00021634
	v_cvt_pk_fp8_f32 v56, v53, v54                             // 000000003E64: D2A20038 00026D35
	v_cvt_off_f32_i4_sdwa v53, v52 dst_sel:DWORD dst_unused:UNUSED_PRESERVE src0_sel:BYTE_1// 000000003E6C: 7E6A1CF9 00011634
	v_cvt_off_f32_i4_sdwa v54, v52 dst_sel:DWORD dst_unused:UNUSED_PRESERVE src0_sel:BYTE_3// 000000003E74: 7E6C1CF9 00031634
	v_cvt_pk_fp8_f32 v57, v53, v54                             // 000000003E7C: D2A20039 00026D35
	v_lshrrev_b32_e32 v55, 4, v52                              // 000000003E84: 206E6884
	v_cvt_off_f32_i4_e32 v53, v55                              // 000000003E88: 7E6A1D37
	v_cvt_off_f32_i4_sdwa v54, v55 dst_sel:DWORD dst_unused:UNUSED_PRESERVE src0_sel:BYTE_2// 000000003E8C: 7E6C1CF9 00021637
	v_cvt_pk_fp8_f32 v56, v53, v54 op_sel:[0,0,1]              // 000000003E94: D2A24038 00026D35
	v_cvt_off_f32_i4_sdwa v53, v55 dst_sel:DWORD dst_unused:UNUSED_PRESERVE src0_sel:BYTE_1// 000000003E9C: 7E6A1CF9 00011637
	v_cvt_off_f32_i4_sdwa v54, v55 dst_sel:DWORD dst_unused:UNUSED_PRESERVE src0_sel:BYTE_3// 000000003EA4: 7E6C1CF9 00031637
	v_cvt_pk_fp8_f32 v57, v53, v54 op_sel:[0,0,1]              // 000000003EAC: D2A24039 00026D35
	v_accvgpr_write_b32 a32, v56                               // 000000003EB4: D3D94020 18000138
	v_accvgpr_write_b32 a33, v57                               // 000000003EBC: D3D94021 18000139
	s_nop 3                                                    // 000000003EC4: BF800003
	v_mfma_f32_16x16x32_fp8_fp8 v[144:147], a[32:33], v[192:193], v[144:147]// 000000003EC8: D3F30090 0E438120
	v_accvgpr_read_b32 v52, a81                                // 000000003ED0: D3D84034 18000151
	v_cvt_off_f32_i4_e32 v53, v52                              // 000000003ED8: 7E6A1D34
	v_cvt_off_f32_i4_sdwa v54, v52 dst_sel:DWORD dst_unused:UNUSED_PRESERVE src0_sel:BYTE_2// 000000003EDC: 7E6C1CF9 00021634
	v_cvt_pk_fp8_f32 v56, v53, v54                             // 000000003EE4: D2A20038 00026D35
	v_cvt_off_f32_i4_sdwa v53, v52 dst_sel:DWORD dst_unused:UNUSED_PRESERVE src0_sel:BYTE_1// 000000003EEC: 7E6A1CF9 00011634
	v_cvt_off_f32_i4_sdwa v54, v52 dst_sel:DWORD dst_unused:UNUSED_PRESERVE src0_sel:BYTE_3// 000000003EF4: 7E6C1CF9 00031634
	v_cvt_pk_fp8_f32 v57, v53, v54                             // 000000003EFC: D2A20039 00026D35
	v_lshrrev_b32_e32 v55, 4, v52                              // 000000003F04: 206E6884
	v_cvt_off_f32_i4_e32 v53, v55                              // 000000003F08: 7E6A1D37
	v_cvt_off_f32_i4_sdwa v54, v55 dst_sel:DWORD dst_unused:UNUSED_PRESERVE src0_sel:BYTE_2// 000000003F0C: 7E6C1CF9 00021637
	v_cvt_pk_fp8_f32 v56, v53, v54 op_sel:[0,0,1]              // 000000003F14: D2A24038 00026D35
	v_cvt_off_f32_i4_sdwa v53, v55 dst_sel:DWORD dst_unused:UNUSED_PRESERVE src0_sel:BYTE_1// 000000003F1C: 7E6A1CF9 00011637
	v_cvt_off_f32_i4_sdwa v54, v55 dst_sel:DWORD dst_unused:UNUSED_PRESERVE src0_sel:BYTE_3// 000000003F24: 7E6C1CF9 00031637
	v_cvt_pk_fp8_f32 v57, v53, v54 op_sel:[0,0,1]              // 000000003F2C: D2A24039 00026D35
	v_accvgpr_write_b32 a34, v56                               // 000000003F34: D3D94022 18000138
	v_accvgpr_write_b32 a35, v57                               // 000000003F3C: D3D94023 18000139
	s_nop 3                                                    // 000000003F44: BF800003
	v_mfma_f32_16x16x32_fp8_fp8 v[144:147], a[34:35], v[194:195], v[144:147]// 000000003F48: D3F30090 0E438522
	buffer_load_dwordx4 a[208:211], v36, s[92:95], 0 offen     // 000000003F50: E05C1000 8097D024
	v_accvgpr_read_b32 v52, a82                                // 000000003F58: D3D84034 18000152
	v_cvt_off_f32_i4_e32 v53, v52                              // 000000003F60: 7E6A1D34
	v_cvt_off_f32_i4_sdwa v54, v52 dst_sel:DWORD dst_unused:UNUSED_PRESERVE src0_sel:BYTE_2// 000000003F64: 7E6C1CF9 00021634
	v_cvt_pk_fp8_f32 v56, v53, v54                             // 000000003F6C: D2A20038 00026D35
	v_cvt_off_f32_i4_sdwa v53, v52 dst_sel:DWORD dst_unused:UNUSED_PRESERVE src0_sel:BYTE_1// 000000003F74: 7E6A1CF9 00011634
	v_cvt_off_f32_i4_sdwa v54, v52 dst_sel:DWORD dst_unused:UNUSED_PRESERVE src0_sel:BYTE_3// 000000003F7C: 7E6C1CF9 00031634
	v_cvt_pk_fp8_f32 v57, v53, v54                             // 000000003F84: D2A20039 00026D35
	v_lshrrev_b32_e32 v55, 4, v52                              // 000000003F8C: 206E6884
	v_cvt_off_f32_i4_e32 v53, v55                              // 000000003F90: 7E6A1D37
	v_cvt_off_f32_i4_sdwa v54, v55 dst_sel:DWORD dst_unused:UNUSED_PRESERVE src0_sel:BYTE_2// 000000003F94: 7E6C1CF9 00021637
	v_cvt_pk_fp8_f32 v56, v53, v54 op_sel:[0,0,1]              // 000000003F9C: D2A24038 00026D35
	v_cvt_off_f32_i4_sdwa v53, v55 dst_sel:DWORD dst_unused:UNUSED_PRESERVE src0_sel:BYTE_1// 000000003FA4: 7E6A1CF9 00011637
	v_cvt_off_f32_i4_sdwa v54, v55 dst_sel:DWORD dst_unused:UNUSED_PRESERVE src0_sel:BYTE_3// 000000003FAC: 7E6C1CF9 00031637
	v_cvt_pk_fp8_f32 v57, v53, v54 op_sel:[0,0,1]              // 000000003FB4: D2A24039 00026D35
	v_accvgpr_write_b32 a36, v56                               // 000000003FBC: D3D94024 18000138
	v_accvgpr_write_b32 a37, v57                               // 000000003FC4: D3D94025 18000139
	s_nop 3                                                    // 000000003FCC: BF800003
	v_mfma_f32_16x16x32_fp8_fp8 v[144:147], a[36:37], v[196:197], v[144:147]// 000000003FD0: D3F30090 0E438924
	v_accvgpr_read_b32 v52, a83                                // 000000003FD8: D3D84034 18000153
	v_cvt_off_f32_i4_e32 v53, v52                              // 000000003FE0: 7E6A1D34
	v_cvt_off_f32_i4_sdwa v54, v52 dst_sel:DWORD dst_unused:UNUSED_PRESERVE src0_sel:BYTE_2// 000000003FE4: 7E6C1CF9 00021634
	v_cvt_pk_fp8_f32 v56, v53, v54                             // 000000003FEC: D2A20038 00026D35
	v_cvt_off_f32_i4_sdwa v53, v52 dst_sel:DWORD dst_unused:UNUSED_PRESERVE src0_sel:BYTE_1// 000000003FF4: 7E6A1CF9 00011634
	v_cvt_off_f32_i4_sdwa v54, v52 dst_sel:DWORD dst_unused:UNUSED_PRESERVE src0_sel:BYTE_3// 000000003FFC: 7E6C1CF9 00031634
	v_cvt_pk_fp8_f32 v57, v53, v54                             // 000000004004: D2A20039 00026D35
	v_lshrrev_b32_e32 v55, 4, v52                              // 00000000400C: 206E6884
	v_cvt_off_f32_i4_e32 v53, v55                              // 000000004010: 7E6A1D37
	v_cvt_off_f32_i4_sdwa v54, v55 dst_sel:DWORD dst_unused:UNUSED_PRESERVE src0_sel:BYTE_2// 000000004014: 7E6C1CF9 00021637
	v_cvt_pk_fp8_f32 v56, v53, v54 op_sel:[0,0,1]              // 00000000401C: D2A24038 00026D35
	v_cvt_off_f32_i4_sdwa v53, v55 dst_sel:DWORD dst_unused:UNUSED_PRESERVE src0_sel:BYTE_1// 000000004024: 7E6A1CF9 00011637
	v_cvt_off_f32_i4_sdwa v54, v55 dst_sel:DWORD dst_unused:UNUSED_PRESERVE src0_sel:BYTE_3// 00000000402C: 7E6C1CF9 00031637
	v_cvt_pk_fp8_f32 v57, v53, v54 op_sel:[0,0,1]              // 000000004034: D2A24039 00026D35
	v_accvgpr_write_b32 a38, v56                               // 00000000403C: D3D94026 18000138
	v_accvgpr_write_b32 a39, v57                               // 000000004044: D3D94027 18000139
	s_nop 3                                                    // 00000000404C: BF800003
	v_mfma_f32_16x16x32_fp8_fp8 v[144:147], a[38:39], v[198:199], v[144:147]// 000000004050: D3F30090 0E438D26
	v_accvgpr_read_b32 v52, a84                                // 000000004058: D3D84034 18000154
	v_cvt_off_f32_i4_e32 v53, v52                              // 000000004060: 7E6A1D34
	v_cvt_off_f32_i4_sdwa v54, v52 dst_sel:DWORD dst_unused:UNUSED_PRESERVE src0_sel:BYTE_2// 000000004064: 7E6C1CF9 00021634
	v_cvt_pk_fp8_f32 v56, v53, v54                             // 00000000406C: D2A20038 00026D35
	v_cvt_off_f32_i4_sdwa v53, v52 dst_sel:DWORD dst_unused:UNUSED_PRESERVE src0_sel:BYTE_1// 000000004074: 7E6A1CF9 00011634
	v_cvt_off_f32_i4_sdwa v54, v52 dst_sel:DWORD dst_unused:UNUSED_PRESERVE src0_sel:BYTE_3// 00000000407C: 7E6C1CF9 00031634
	v_cvt_pk_fp8_f32 v57, v53, v54                             // 000000004084: D2A20039 00026D35
	v_lshrrev_b32_e32 v55, 4, v52                              // 00000000408C: 206E6884
	v_cvt_off_f32_i4_e32 v53, v55                              // 000000004090: 7E6A1D37
	v_cvt_off_f32_i4_sdwa v54, v55 dst_sel:DWORD dst_unused:UNUSED_PRESERVE src0_sel:BYTE_2// 000000004094: 7E6C1CF9 00021637
	v_cvt_pk_fp8_f32 v56, v53, v54 op_sel:[0,0,1]              // 00000000409C: D2A24038 00026D35
	v_cvt_off_f32_i4_sdwa v53, v55 dst_sel:DWORD dst_unused:UNUSED_PRESERVE src0_sel:BYTE_1// 0000000040A4: 7E6A1CF9 00011637
	v_cvt_off_f32_i4_sdwa v54, v55 dst_sel:DWORD dst_unused:UNUSED_PRESERVE src0_sel:BYTE_3// 0000000040AC: 7E6C1CF9 00031637
	v_cvt_pk_fp8_f32 v57, v53, v54 op_sel:[0,0,1]              // 0000000040B4: D2A24039 00026D35
	v_accvgpr_write_b32 a40, v56                               // 0000000040BC: D3D94028 18000138
	v_accvgpr_write_b32 a41, v57                               // 0000000040C4: D3D94029 18000139
	s_nop 3                                                    // 0000000040CC: BF800003
	v_mfma_f32_16x16x32_fp8_fp8 v[144:147], a[40:41], v[200:201], v[144:147]// 0000000040D0: D3F30090 0E439128
	v_accvgpr_read_b32 v52, a85                                // 0000000040D8: D3D84034 18000155
	v_cvt_off_f32_i4_e32 v53, v52                              // 0000000040E0: 7E6A1D34
	v_cvt_off_f32_i4_sdwa v54, v52 dst_sel:DWORD dst_unused:UNUSED_PRESERVE src0_sel:BYTE_2// 0000000040E4: 7E6C1CF9 00021634
	v_cvt_pk_fp8_f32 v56, v53, v54                             // 0000000040EC: D2A20038 00026D35
	v_cvt_off_f32_i4_sdwa v53, v52 dst_sel:DWORD dst_unused:UNUSED_PRESERVE src0_sel:BYTE_1// 0000000040F4: 7E6A1CF9 00011634
	v_cvt_off_f32_i4_sdwa v54, v52 dst_sel:DWORD dst_unused:UNUSED_PRESERVE src0_sel:BYTE_3// 0000000040FC: 7E6C1CF9 00031634
	v_cvt_pk_fp8_f32 v57, v53, v54                             // 000000004104: D2A20039 00026D35
	v_lshrrev_b32_e32 v55, 4, v52                              // 00000000410C: 206E6884
	v_cvt_off_f32_i4_e32 v53, v55                              // 000000004110: 7E6A1D37
	v_cvt_off_f32_i4_sdwa v54, v55 dst_sel:DWORD dst_unused:UNUSED_PRESERVE src0_sel:BYTE_2// 000000004114: 7E6C1CF9 00021637
	v_cvt_pk_fp8_f32 v56, v53, v54 op_sel:[0,0,1]              // 00000000411C: D2A24038 00026D35
	v_cvt_off_f32_i4_sdwa v53, v55 dst_sel:DWORD dst_unused:UNUSED_PRESERVE src0_sel:BYTE_1// 000000004124: 7E6A1CF9 00011637
	v_cvt_off_f32_i4_sdwa v54, v55 dst_sel:DWORD dst_unused:UNUSED_PRESERVE src0_sel:BYTE_3// 00000000412C: 7E6C1CF9 00031637
	v_cvt_pk_fp8_f32 v57, v53, v54 op_sel:[0,0,1]              // 000000004134: D2A24039 00026D35
	v_accvgpr_write_b32 a42, v56                               // 00000000413C: D3D9402A 18000138
	v_accvgpr_write_b32 a43, v57                               // 000000004144: D3D9402B 18000139
	s_nop 3                                                    // 00000000414C: BF800003
	v_mfma_f32_16x16x32_fp8_fp8 v[144:147], a[42:43], v[202:203], v[144:147]// 000000004150: D3F30090 0E43952A
	v_accvgpr_read_b32 v52, a86                                // 000000004158: D3D84034 18000156
	v_cvt_off_f32_i4_e32 v53, v52                              // 000000004160: 7E6A1D34
	v_cvt_off_f32_i4_sdwa v54, v52 dst_sel:DWORD dst_unused:UNUSED_PRESERVE src0_sel:BYTE_2// 000000004164: 7E6C1CF9 00021634
	v_cvt_pk_fp8_f32 v56, v53, v54                             // 00000000416C: D2A20038 00026D35
	v_cvt_off_f32_i4_sdwa v53, v52 dst_sel:DWORD dst_unused:UNUSED_PRESERVE src0_sel:BYTE_1// 000000004174: 7E6A1CF9 00011634
	v_cvt_off_f32_i4_sdwa v54, v52 dst_sel:DWORD dst_unused:UNUSED_PRESERVE src0_sel:BYTE_3// 00000000417C: 7E6C1CF9 00031634
	v_cvt_pk_fp8_f32 v57, v53, v54                             // 000000004184: D2A20039 00026D35
	v_lshrrev_b32_e32 v55, 4, v52                              // 00000000418C: 206E6884
	v_cvt_off_f32_i4_e32 v53, v55                              // 000000004190: 7E6A1D37
	v_cvt_off_f32_i4_sdwa v54, v55 dst_sel:DWORD dst_unused:UNUSED_PRESERVE src0_sel:BYTE_2// 000000004194: 7E6C1CF9 00021637
	v_cvt_pk_fp8_f32 v56, v53, v54 op_sel:[0,0,1]              // 00000000419C: D2A24038 00026D35
	v_cvt_off_f32_i4_sdwa v53, v55 dst_sel:DWORD dst_unused:UNUSED_PRESERVE src0_sel:BYTE_1// 0000000041A4: 7E6A1CF9 00011637
	v_cvt_off_f32_i4_sdwa v54, v55 dst_sel:DWORD dst_unused:UNUSED_PRESERVE src0_sel:BYTE_3// 0000000041AC: 7E6C1CF9 00031637
	v_cvt_pk_fp8_f32 v57, v53, v54 op_sel:[0,0,1]              // 0000000041B4: D2A24039 00026D35
	v_accvgpr_write_b32 a44, v56                               // 0000000041BC: D3D9402C 18000138
	v_accvgpr_write_b32 a45, v57                               // 0000000041C4: D3D9402D 18000139
	s_nop 3                                                    // 0000000041CC: BF800003
	v_mfma_f32_16x16x32_fp8_fp8 v[144:147], a[44:45], v[204:205], v[144:147]// 0000000041D0: D3F30090 0E43992C
	v_accvgpr_read_b32 v52, a87                                // 0000000041D8: D3D84034 18000157
	v_cvt_off_f32_i4_e32 v53, v52                              // 0000000041E0: 7E6A1D34
	v_cvt_off_f32_i4_sdwa v54, v52 dst_sel:DWORD dst_unused:UNUSED_PRESERVE src0_sel:BYTE_2// 0000000041E4: 7E6C1CF9 00021634
	v_cvt_pk_fp8_f32 v56, v53, v54                             // 0000000041EC: D2A20038 00026D35
	v_cvt_off_f32_i4_sdwa v53, v52 dst_sel:DWORD dst_unused:UNUSED_PRESERVE src0_sel:BYTE_1// 0000000041F4: 7E6A1CF9 00011634
	v_cvt_off_f32_i4_sdwa v54, v52 dst_sel:DWORD dst_unused:UNUSED_PRESERVE src0_sel:BYTE_3// 0000000041FC: 7E6C1CF9 00031634
	v_cvt_pk_fp8_f32 v57, v53, v54                             // 000000004204: D2A20039 00026D35
	v_lshrrev_b32_e32 v55, 4, v52                              // 00000000420C: 206E6884
	v_cvt_off_f32_i4_e32 v53, v55                              // 000000004210: 7E6A1D37
	v_cvt_off_f32_i4_sdwa v54, v55 dst_sel:DWORD dst_unused:UNUSED_PRESERVE src0_sel:BYTE_2// 000000004214: 7E6C1CF9 00021637
	v_cvt_pk_fp8_f32 v56, v53, v54 op_sel:[0,0,1]              // 00000000421C: D2A24038 00026D35
	v_cvt_off_f32_i4_sdwa v53, v55 dst_sel:DWORD dst_unused:UNUSED_PRESERVE src0_sel:BYTE_1// 000000004224: 7E6A1CF9 00011637
	v_cvt_off_f32_i4_sdwa v54, v55 dst_sel:DWORD dst_unused:UNUSED_PRESERVE src0_sel:BYTE_3// 00000000422C: 7E6C1CF9 00031637
	v_cvt_pk_fp8_f32 v57, v53, v54 op_sel:[0,0,1]              // 000000004234: D2A24039 00026D35
	v_accvgpr_write_b32 a46, v56                               // 00000000423C: D3D9402E 18000138
	v_accvgpr_write_b32 a47, v57                               // 000000004244: D3D9402F 18000139
	s_nop 3                                                    // 00000000424C: BF800003
	v_mfma_f32_16x16x32_fp8_fp8 v[144:147], a[46:47], v[206:207], v[144:147]// 000000004250: D3F30090 0E439D2E
	v_mfma_f32_16x16x32_fp8_fp8 v[148:151], a[32:33], v[208:209], v[148:151]// 000000004258: D3F30094 0E53A120
	v_mfma_f32_16x16x32_fp8_fp8 v[148:151], a[34:35], v[210:211], v[148:151]// 000000004260: D3F30094 0E53A522
	buffer_load_dwordx4 a[212:215], v36, s[92:95], 0 offen offset:1024// 000000004268: E05C1400 8097D424
	v_mfma_f32_16x16x32_fp8_fp8 v[148:151], a[36:37], v[212:213], v[148:151]// 000000004270: D3F30094 0E53A924
	v_mfma_f32_16x16x32_fp8_fp8 v[148:151], a[38:39], v[214:215], v[148:151]// 000000004278: D3F30094 0E53AD26
	v_mfma_f32_16x16x32_fp8_fp8 v[148:151], a[40:41], v[216:217], v[148:151]// 000000004280: D3F30094 0E53B128
	v_mfma_f32_16x16x32_fp8_fp8 v[148:151], a[42:43], v[218:219], v[148:151]// 000000004288: D3F30094 0E53B52A
	v_mfma_f32_16x16x32_fp8_fp8 v[148:151], a[44:45], v[220:221], v[148:151]// 000000004290: D3F30094 0E53B92C
	v_mfma_f32_16x16x32_fp8_fp8 v[148:151], a[46:47], v[222:223], v[148:151]// 000000004298: D3F30094 0E53BD2E
	s_waitcnt vmcnt(22)                                        // 0000000042A0: BF8C4F76
	v_accvgpr_read_b32 v52, a88                                // 0000000042A4: D3D84034 18000158
	v_cvt_off_f32_i4_e32 v53, v52                              // 0000000042AC: 7E6A1D34
	v_cvt_off_f32_i4_sdwa v54, v52 dst_sel:DWORD dst_unused:UNUSED_PRESERVE src0_sel:BYTE_2// 0000000042B0: 7E6C1CF9 00021634
	v_cvt_pk_fp8_f32 v56, v53, v54                             // 0000000042B8: D2A20038 00026D35
	v_cvt_off_f32_i4_sdwa v53, v52 dst_sel:DWORD dst_unused:UNUSED_PRESERVE src0_sel:BYTE_1// 0000000042C0: 7E6A1CF9 00011634
	v_cvt_off_f32_i4_sdwa v54, v52 dst_sel:DWORD dst_unused:UNUSED_PRESERVE src0_sel:BYTE_3// 0000000042C8: 7E6C1CF9 00031634
	v_cvt_pk_fp8_f32 v57, v53, v54                             // 0000000042D0: D2A20039 00026D35
	v_lshrrev_b32_e32 v55, 4, v52                              // 0000000042D8: 206E6884
	v_cvt_off_f32_i4_e32 v53, v55                              // 0000000042DC: 7E6A1D37
	v_cvt_off_f32_i4_sdwa v54, v55 dst_sel:DWORD dst_unused:UNUSED_PRESERVE src0_sel:BYTE_2// 0000000042E0: 7E6C1CF9 00021637
	v_cvt_pk_fp8_f32 v56, v53, v54 op_sel:[0,0,1]              // 0000000042E8: D2A24038 00026D35
	v_cvt_off_f32_i4_sdwa v53, v55 dst_sel:DWORD dst_unused:UNUSED_PRESERVE src0_sel:BYTE_1// 0000000042F0: 7E6A1CF9 00011637
	v_cvt_off_f32_i4_sdwa v54, v55 dst_sel:DWORD dst_unused:UNUSED_PRESERVE src0_sel:BYTE_3// 0000000042F8: 7E6C1CF9 00031637
	v_cvt_pk_fp8_f32 v57, v53, v54 op_sel:[0,0,1]              // 000000004300: D2A24039 00026D35
	v_accvgpr_write_b32 a48, v56                               // 000000004308: D3D94030 18000138
	v_accvgpr_write_b32 a49, v57                               // 000000004310: D3D94031 18000139
	s_nop 3                                                    // 000000004318: BF800003
	v_mfma_f32_16x16x32_fp8_fp8 v[152:155], a[48:49], v[192:193], v[152:155]// 00000000431C: D3F30098 0E638130
	v_accvgpr_read_b32 v52, a89                                // 000000004324: D3D84034 18000159
	v_cvt_off_f32_i4_e32 v53, v52                              // 00000000432C: 7E6A1D34
	v_cvt_off_f32_i4_sdwa v54, v52 dst_sel:DWORD dst_unused:UNUSED_PRESERVE src0_sel:BYTE_2// 000000004330: 7E6C1CF9 00021634
	v_cvt_pk_fp8_f32 v56, v53, v54                             // 000000004338: D2A20038 00026D35
	v_cvt_off_f32_i4_sdwa v53, v52 dst_sel:DWORD dst_unused:UNUSED_PRESERVE src0_sel:BYTE_1// 000000004340: 7E6A1CF9 00011634
	v_cvt_off_f32_i4_sdwa v54, v52 dst_sel:DWORD dst_unused:UNUSED_PRESERVE src0_sel:BYTE_3// 000000004348: 7E6C1CF9 00031634
	v_cvt_pk_fp8_f32 v57, v53, v54                             // 000000004350: D2A20039 00026D35
	v_lshrrev_b32_e32 v55, 4, v52                              // 000000004358: 206E6884
	v_cvt_off_f32_i4_e32 v53, v55                              // 00000000435C: 7E6A1D37
	v_cvt_off_f32_i4_sdwa v54, v55 dst_sel:DWORD dst_unused:UNUSED_PRESERVE src0_sel:BYTE_2// 000000004360: 7E6C1CF9 00021637
	v_cvt_pk_fp8_f32 v56, v53, v54 op_sel:[0,0,1]              // 000000004368: D2A24038 00026D35
	v_cvt_off_f32_i4_sdwa v53, v55 dst_sel:DWORD dst_unused:UNUSED_PRESERVE src0_sel:BYTE_1// 000000004370: 7E6A1CF9 00011637
	v_cvt_off_f32_i4_sdwa v54, v55 dst_sel:DWORD dst_unused:UNUSED_PRESERVE src0_sel:BYTE_3// 000000004378: 7E6C1CF9 00031637
	v_cvt_pk_fp8_f32 v57, v53, v54 op_sel:[0,0,1]              // 000000004380: D2A24039 00026D35
	v_accvgpr_write_b32 a50, v56                               // 000000004388: D3D94032 18000138
	v_accvgpr_write_b32 a51, v57                               // 000000004390: D3D94033 18000139
	s_nop 3                                                    // 000000004398: BF800003
	v_mfma_f32_16x16x32_fp8_fp8 v[152:155], a[50:51], v[194:195], v[152:155]// 00000000439C: D3F30098 0E638532
	buffer_load_dwordx4 a[216:219], v37, s[92:95], 0 offen     // 0000000043A4: E05C1000 8097D825
	v_accvgpr_read_b32 v52, a90                                // 0000000043AC: D3D84034 1800015A
	v_cvt_off_f32_i4_e32 v53, v52                              // 0000000043B4: 7E6A1D34
	v_cvt_off_f32_i4_sdwa v54, v52 dst_sel:DWORD dst_unused:UNUSED_PRESERVE src0_sel:BYTE_2// 0000000043B8: 7E6C1CF9 00021634
	v_cvt_pk_fp8_f32 v56, v53, v54                             // 0000000043C0: D2A20038 00026D35
	v_cvt_off_f32_i4_sdwa v53, v52 dst_sel:DWORD dst_unused:UNUSED_PRESERVE src0_sel:BYTE_1// 0000000043C8: 7E6A1CF9 00011634
	v_cvt_off_f32_i4_sdwa v54, v52 dst_sel:DWORD dst_unused:UNUSED_PRESERVE src0_sel:BYTE_3// 0000000043D0: 7E6C1CF9 00031634
	v_cvt_pk_fp8_f32 v57, v53, v54                             // 0000000043D8: D2A20039 00026D35
	v_lshrrev_b32_e32 v55, 4, v52                              // 0000000043E0: 206E6884
	v_cvt_off_f32_i4_e32 v53, v55                              // 0000000043E4: 7E6A1D37
	v_cvt_off_f32_i4_sdwa v54, v55 dst_sel:DWORD dst_unused:UNUSED_PRESERVE src0_sel:BYTE_2// 0000000043E8: 7E6C1CF9 00021637
	v_cvt_pk_fp8_f32 v56, v53, v54 op_sel:[0,0,1]              // 0000000043F0: D2A24038 00026D35
	v_cvt_off_f32_i4_sdwa v53, v55 dst_sel:DWORD dst_unused:UNUSED_PRESERVE src0_sel:BYTE_1// 0000000043F8: 7E6A1CF9 00011637
	v_cvt_off_f32_i4_sdwa v54, v55 dst_sel:DWORD dst_unused:UNUSED_PRESERVE src0_sel:BYTE_3// 000000004400: 7E6C1CF9 00031637
	v_cvt_pk_fp8_f32 v57, v53, v54 op_sel:[0,0,1]              // 000000004408: D2A24039 00026D35
	v_accvgpr_write_b32 a52, v56                               // 000000004410: D3D94034 18000138
	v_accvgpr_write_b32 a53, v57                               // 000000004418: D3D94035 18000139
	s_nop 3                                                    // 000000004420: BF800003
	v_mfma_f32_16x16x32_fp8_fp8 v[152:155], a[52:53], v[196:197], v[152:155]// 000000004424: D3F30098 0E638934
	v_accvgpr_read_b32 v52, a91                                // 00000000442C: D3D84034 1800015B
	v_cvt_off_f32_i4_e32 v53, v52                              // 000000004434: 7E6A1D34
	v_cvt_off_f32_i4_sdwa v54, v52 dst_sel:DWORD dst_unused:UNUSED_PRESERVE src0_sel:BYTE_2// 000000004438: 7E6C1CF9 00021634
	v_cvt_pk_fp8_f32 v56, v53, v54                             // 000000004440: D2A20038 00026D35
	v_cvt_off_f32_i4_sdwa v53, v52 dst_sel:DWORD dst_unused:UNUSED_PRESERVE src0_sel:BYTE_1// 000000004448: 7E6A1CF9 00011634
	v_cvt_off_f32_i4_sdwa v54, v52 dst_sel:DWORD dst_unused:UNUSED_PRESERVE src0_sel:BYTE_3// 000000004450: 7E6C1CF9 00031634
	v_cvt_pk_fp8_f32 v57, v53, v54                             // 000000004458: D2A20039 00026D35
	v_lshrrev_b32_e32 v55, 4, v52                              // 000000004460: 206E6884
	v_cvt_off_f32_i4_e32 v53, v55                              // 000000004464: 7E6A1D37
	v_cvt_off_f32_i4_sdwa v54, v55 dst_sel:DWORD dst_unused:UNUSED_PRESERVE src0_sel:BYTE_2// 000000004468: 7E6C1CF9 00021637
	v_cvt_pk_fp8_f32 v56, v53, v54 op_sel:[0,0,1]              // 000000004470: D2A24038 00026D35
	v_cvt_off_f32_i4_sdwa v53, v55 dst_sel:DWORD dst_unused:UNUSED_PRESERVE src0_sel:BYTE_1// 000000004478: 7E6A1CF9 00011637
	v_cvt_off_f32_i4_sdwa v54, v55 dst_sel:DWORD dst_unused:UNUSED_PRESERVE src0_sel:BYTE_3// 000000004480: 7E6C1CF9 00031637
	v_cvt_pk_fp8_f32 v57, v53, v54 op_sel:[0,0,1]              // 000000004488: D2A24039 00026D35
	v_accvgpr_write_b32 a54, v56                               // 000000004490: D3D94036 18000138
	v_accvgpr_write_b32 a55, v57                               // 000000004498: D3D94037 18000139
	s_nop 3                                                    // 0000000044A0: BF800003
	v_mfma_f32_16x16x32_fp8_fp8 v[152:155], a[54:55], v[198:199], v[152:155]// 0000000044A4: D3F30098 0E638D36
	v_accvgpr_read_b32 v52, a92                                // 0000000044AC: D3D84034 1800015C
	v_cvt_off_f32_i4_e32 v53, v52                              // 0000000044B4: 7E6A1D34
	v_cvt_off_f32_i4_sdwa v54, v52 dst_sel:DWORD dst_unused:UNUSED_PRESERVE src0_sel:BYTE_2// 0000000044B8: 7E6C1CF9 00021634
	v_cvt_pk_fp8_f32 v56, v53, v54                             // 0000000044C0: D2A20038 00026D35
	v_cvt_off_f32_i4_sdwa v53, v52 dst_sel:DWORD dst_unused:UNUSED_PRESERVE src0_sel:BYTE_1// 0000000044C8: 7E6A1CF9 00011634
	v_cvt_off_f32_i4_sdwa v54, v52 dst_sel:DWORD dst_unused:UNUSED_PRESERVE src0_sel:BYTE_3// 0000000044D0: 7E6C1CF9 00031634
	v_cvt_pk_fp8_f32 v57, v53, v54                             // 0000000044D8: D2A20039 00026D35
	v_lshrrev_b32_e32 v55, 4, v52                              // 0000000044E0: 206E6884
	v_cvt_off_f32_i4_e32 v53, v55                              // 0000000044E4: 7E6A1D37
	v_cvt_off_f32_i4_sdwa v54, v55 dst_sel:DWORD dst_unused:UNUSED_PRESERVE src0_sel:BYTE_2// 0000000044E8: 7E6C1CF9 00021637
	v_cvt_pk_fp8_f32 v56, v53, v54 op_sel:[0,0,1]              // 0000000044F0: D2A24038 00026D35
	v_cvt_off_f32_i4_sdwa v53, v55 dst_sel:DWORD dst_unused:UNUSED_PRESERVE src0_sel:BYTE_1// 0000000044F8: 7E6A1CF9 00011637
	v_cvt_off_f32_i4_sdwa v54, v55 dst_sel:DWORD dst_unused:UNUSED_PRESERVE src0_sel:BYTE_3// 000000004500: 7E6C1CF9 00031637
	v_cvt_pk_fp8_f32 v57, v53, v54 op_sel:[0,0,1]              // 000000004508: D2A24039 00026D35
	v_accvgpr_write_b32 a56, v56                               // 000000004510: D3D94038 18000138
	v_accvgpr_write_b32 a57, v57                               // 000000004518: D3D94039 18000139
	s_nop 3                                                    // 000000004520: BF800003
	v_mfma_f32_16x16x32_fp8_fp8 v[152:155], a[56:57], v[200:201], v[152:155]// 000000004524: D3F30098 0E639138
	v_accvgpr_read_b32 v52, a93                                // 00000000452C: D3D84034 1800015D
	v_cvt_off_f32_i4_e32 v53, v52                              // 000000004534: 7E6A1D34
	v_cvt_off_f32_i4_sdwa v54, v52 dst_sel:DWORD dst_unused:UNUSED_PRESERVE src0_sel:BYTE_2// 000000004538: 7E6C1CF9 00021634
	v_cvt_pk_fp8_f32 v56, v53, v54                             // 000000004540: D2A20038 00026D35
	v_cvt_off_f32_i4_sdwa v53, v52 dst_sel:DWORD dst_unused:UNUSED_PRESERVE src0_sel:BYTE_1// 000000004548: 7E6A1CF9 00011634
	v_cvt_off_f32_i4_sdwa v54, v52 dst_sel:DWORD dst_unused:UNUSED_PRESERVE src0_sel:BYTE_3// 000000004550: 7E6C1CF9 00031634
	v_cvt_pk_fp8_f32 v57, v53, v54                             // 000000004558: D2A20039 00026D35
	v_lshrrev_b32_e32 v55, 4, v52                              // 000000004560: 206E6884
	v_cvt_off_f32_i4_e32 v53, v55                              // 000000004564: 7E6A1D37
	v_cvt_off_f32_i4_sdwa v54, v55 dst_sel:DWORD dst_unused:UNUSED_PRESERVE src0_sel:BYTE_2// 000000004568: 7E6C1CF9 00021637
	v_cvt_pk_fp8_f32 v56, v53, v54 op_sel:[0,0,1]              // 000000004570: D2A24038 00026D35
	v_cvt_off_f32_i4_sdwa v53, v55 dst_sel:DWORD dst_unused:UNUSED_PRESERVE src0_sel:BYTE_1// 000000004578: 7E6A1CF9 00011637
	v_cvt_off_f32_i4_sdwa v54, v55 dst_sel:DWORD dst_unused:UNUSED_PRESERVE src0_sel:BYTE_3// 000000004580: 7E6C1CF9 00031637
	v_cvt_pk_fp8_f32 v57, v53, v54 op_sel:[0,0,1]              // 000000004588: D2A24039 00026D35
	v_accvgpr_write_b32 a58, v56                               // 000000004590: D3D9403A 18000138
	v_accvgpr_write_b32 a59, v57                               // 000000004598: D3D9403B 18000139
	s_nop 3                                                    // 0000000045A0: BF800003
	v_mfma_f32_16x16x32_fp8_fp8 v[152:155], a[58:59], v[202:203], v[152:155]// 0000000045A4: D3F30098 0E63953A
	v_accvgpr_read_b32 v52, a94                                // 0000000045AC: D3D84034 1800015E
	v_cvt_off_f32_i4_e32 v53, v52                              // 0000000045B4: 7E6A1D34
	v_cvt_off_f32_i4_sdwa v54, v52 dst_sel:DWORD dst_unused:UNUSED_PRESERVE src0_sel:BYTE_2// 0000000045B8: 7E6C1CF9 00021634
	v_cvt_pk_fp8_f32 v56, v53, v54                             // 0000000045C0: D2A20038 00026D35
	v_cvt_off_f32_i4_sdwa v53, v52 dst_sel:DWORD dst_unused:UNUSED_PRESERVE src0_sel:BYTE_1// 0000000045C8: 7E6A1CF9 00011634
	v_cvt_off_f32_i4_sdwa v54, v52 dst_sel:DWORD dst_unused:UNUSED_PRESERVE src0_sel:BYTE_3// 0000000045D0: 7E6C1CF9 00031634
	v_cvt_pk_fp8_f32 v57, v53, v54                             // 0000000045D8: D2A20039 00026D35
	v_lshrrev_b32_e32 v55, 4, v52                              // 0000000045E0: 206E6884
	v_cvt_off_f32_i4_e32 v53, v55                              // 0000000045E4: 7E6A1D37
	v_cvt_off_f32_i4_sdwa v54, v55 dst_sel:DWORD dst_unused:UNUSED_PRESERVE src0_sel:BYTE_2// 0000000045E8: 7E6C1CF9 00021637
	v_cvt_pk_fp8_f32 v56, v53, v54 op_sel:[0,0,1]              // 0000000045F0: D2A24038 00026D35
	v_cvt_off_f32_i4_sdwa v53, v55 dst_sel:DWORD dst_unused:UNUSED_PRESERVE src0_sel:BYTE_1// 0000000045F8: 7E6A1CF9 00011637
	v_cvt_off_f32_i4_sdwa v54, v55 dst_sel:DWORD dst_unused:UNUSED_PRESERVE src0_sel:BYTE_3// 000000004600: 7E6C1CF9 00031637
	v_cvt_pk_fp8_f32 v57, v53, v54 op_sel:[0,0,1]              // 000000004608: D2A24039 00026D35
	v_accvgpr_write_b32 a60, v56                               // 000000004610: D3D9403C 18000138
	v_accvgpr_write_b32 a61, v57                               // 000000004618: D3D9403D 18000139
	s_nop 3                                                    // 000000004620: BF800003
	v_mfma_f32_16x16x32_fp8_fp8 v[152:155], a[60:61], v[204:205], v[152:155]// 000000004624: D3F30098 0E63993C
	v_accvgpr_read_b32 v52, a95                                // 00000000462C: D3D84034 1800015F
	v_cvt_off_f32_i4_e32 v53, v52                              // 000000004634: 7E6A1D34
	v_cvt_off_f32_i4_sdwa v54, v52 dst_sel:DWORD dst_unused:UNUSED_PRESERVE src0_sel:BYTE_2// 000000004638: 7E6C1CF9 00021634
	v_cvt_pk_fp8_f32 v56, v53, v54                             // 000000004640: D2A20038 00026D35
	v_cvt_off_f32_i4_sdwa v53, v52 dst_sel:DWORD dst_unused:UNUSED_PRESERVE src0_sel:BYTE_1// 000000004648: 7E6A1CF9 00011634
	v_cvt_off_f32_i4_sdwa v54, v52 dst_sel:DWORD dst_unused:UNUSED_PRESERVE src0_sel:BYTE_3// 000000004650: 7E6C1CF9 00031634
	v_cvt_pk_fp8_f32 v57, v53, v54                             // 000000004658: D2A20039 00026D35
	v_lshrrev_b32_e32 v55, 4, v52                              // 000000004660: 206E6884
	v_cvt_off_f32_i4_e32 v53, v55                              // 000000004664: 7E6A1D37
	v_cvt_off_f32_i4_sdwa v54, v55 dst_sel:DWORD dst_unused:UNUSED_PRESERVE src0_sel:BYTE_2// 000000004668: 7E6C1CF9 00021637
	v_cvt_pk_fp8_f32 v56, v53, v54 op_sel:[0,0,1]              // 000000004670: D2A24038 00026D35
	v_cvt_off_f32_i4_sdwa v53, v55 dst_sel:DWORD dst_unused:UNUSED_PRESERVE src0_sel:BYTE_1// 000000004678: 7E6A1CF9 00011637
	v_cvt_off_f32_i4_sdwa v54, v55 dst_sel:DWORD dst_unused:UNUSED_PRESERVE src0_sel:BYTE_3// 000000004680: 7E6C1CF9 00031637
	v_cvt_pk_fp8_f32 v57, v53, v54 op_sel:[0,0,1]              // 000000004688: D2A24039 00026D35
	v_accvgpr_write_b32 a62, v56                               // 000000004690: D3D9403E 18000138
	v_accvgpr_write_b32 a63, v57                               // 000000004698: D3D9403F 18000139
	s_nop 3                                                    // 0000000046A0: BF800003
	v_mfma_f32_16x16x32_fp8_fp8 v[152:155], a[62:63], v[206:207], v[152:155]// 0000000046A4: D3F30098 0E639D3E
	v_mfma_f32_16x16x32_fp8_fp8 v[156:159], a[48:49], v[208:209], v[156:159]// 0000000046AC: D3F3009C 0E73A130
	v_mfma_f32_16x16x32_fp8_fp8 v[156:159], a[50:51], v[210:211], v[156:159]// 0000000046B4: D3F3009C 0E73A532
	buffer_load_dwordx4 a[220:223], v37, s[92:95], 0 offen offset:1024// 0000000046BC: E05C1400 8097DC25
	v_mfma_f32_16x16x32_fp8_fp8 v[156:159], a[52:53], v[212:213], v[156:159]// 0000000046C4: D3F3009C 0E73A934
	v_mfma_f32_16x16x32_fp8_fp8 v[156:159], a[54:55], v[214:215], v[156:159]// 0000000046CC: D3F3009C 0E73AD36
	v_mfma_f32_16x16x32_fp8_fp8 v[156:159], a[56:57], v[216:217], v[156:159]// 0000000046D4: D3F3009C 0E73B138
	v_mfma_f32_16x16x32_fp8_fp8 v[156:159], a[58:59], v[218:219], v[156:159]// 0000000046DC: D3F3009C 0E73B53A
	v_mfma_f32_16x16x32_fp8_fp8 v[156:159], a[60:61], v[220:221], v[156:159]// 0000000046E4: D3F3009C 0E73B93C
	v_mfma_f32_16x16x32_fp8_fp8 v[156:159], a[62:63], v[222:223], v[156:159]// 0000000046EC: D3F3009C 0E73BD3E
	s_waitcnt vmcnt(22)                                        // 0000000046F4: BF8C4F76
	v_accvgpr_read_b32 v52, a96                                // 0000000046F8: D3D84034 18000160
	v_cvt_off_f32_i4_e32 v53, v52                              // 000000004700: 7E6A1D34
	v_cvt_off_f32_i4_sdwa v54, v52 dst_sel:DWORD dst_unused:UNUSED_PRESERVE src0_sel:BYTE_2// 000000004704: 7E6C1CF9 00021634
	v_cvt_pk_fp8_f32 v56, v53, v54                             // 00000000470C: D2A20038 00026D35
	v_cvt_off_f32_i4_sdwa v53, v52 dst_sel:DWORD dst_unused:UNUSED_PRESERVE src0_sel:BYTE_1// 000000004714: 7E6A1CF9 00011634
	v_cvt_off_f32_i4_sdwa v54, v52 dst_sel:DWORD dst_unused:UNUSED_PRESERVE src0_sel:BYTE_3// 00000000471C: 7E6C1CF9 00031634
	v_cvt_pk_fp8_f32 v57, v53, v54                             // 000000004724: D2A20039 00026D35
	v_lshrrev_b32_e32 v55, 4, v52                              // 00000000472C: 206E6884
	v_cvt_off_f32_i4_e32 v53, v55                              // 000000004730: 7E6A1D37
	v_cvt_off_f32_i4_sdwa v54, v55 dst_sel:DWORD dst_unused:UNUSED_PRESERVE src0_sel:BYTE_2// 000000004734: 7E6C1CF9 00021637
	v_cvt_pk_fp8_f32 v56, v53, v54 op_sel:[0,0,1]              // 00000000473C: D2A24038 00026D35
	v_cvt_off_f32_i4_sdwa v53, v55 dst_sel:DWORD dst_unused:UNUSED_PRESERVE src0_sel:BYTE_1// 000000004744: 7E6A1CF9 00011637
	v_cvt_off_f32_i4_sdwa v54, v55 dst_sel:DWORD dst_unused:UNUSED_PRESERVE src0_sel:BYTE_3// 00000000474C: 7E6C1CF9 00031637
	v_cvt_pk_fp8_f32 v57, v53, v54 op_sel:[0,0,1]              // 000000004754: D2A24039 00026D35
	v_accvgpr_write_b32 a64, v56                               // 00000000475C: D3D94040 18000138
	v_accvgpr_write_b32 a65, v57                               // 000000004764: D3D94041 18000139
	s_nop 3                                                    // 00000000476C: BF800003
	v_mfma_f32_16x16x32_fp8_fp8 v[160:163], a[64:65], v[192:193], v[160:163]// 000000004770: D3F300A0 0E838140
	v_accvgpr_read_b32 v52, a97                                // 000000004778: D3D84034 18000161
	v_cvt_off_f32_i4_e32 v53, v52                              // 000000004780: 7E6A1D34
	v_cvt_off_f32_i4_sdwa v54, v52 dst_sel:DWORD dst_unused:UNUSED_PRESERVE src0_sel:BYTE_2// 000000004784: 7E6C1CF9 00021634
	v_cvt_pk_fp8_f32 v56, v53, v54                             // 00000000478C: D2A20038 00026D35
	v_cvt_off_f32_i4_sdwa v53, v52 dst_sel:DWORD dst_unused:UNUSED_PRESERVE src0_sel:BYTE_1// 000000004794: 7E6A1CF9 00011634
	v_cvt_off_f32_i4_sdwa v54, v52 dst_sel:DWORD dst_unused:UNUSED_PRESERVE src0_sel:BYTE_3// 00000000479C: 7E6C1CF9 00031634
	v_cvt_pk_fp8_f32 v57, v53, v54                             // 0000000047A4: D2A20039 00026D35
	v_lshrrev_b32_e32 v55, 4, v52                              // 0000000047AC: 206E6884
	v_cvt_off_f32_i4_e32 v53, v55                              // 0000000047B0: 7E6A1D37
	v_cvt_off_f32_i4_sdwa v54, v55 dst_sel:DWORD dst_unused:UNUSED_PRESERVE src0_sel:BYTE_2// 0000000047B4: 7E6C1CF9 00021637
	v_cvt_pk_fp8_f32 v56, v53, v54 op_sel:[0,0,1]              // 0000000047BC: D2A24038 00026D35
	v_cvt_off_f32_i4_sdwa v53, v55 dst_sel:DWORD dst_unused:UNUSED_PRESERVE src0_sel:BYTE_1// 0000000047C4: 7E6A1CF9 00011637
	v_cvt_off_f32_i4_sdwa v54, v55 dst_sel:DWORD dst_unused:UNUSED_PRESERVE src0_sel:BYTE_3// 0000000047CC: 7E6C1CF9 00031637
	v_cvt_pk_fp8_f32 v57, v53, v54 op_sel:[0,0,1]              // 0000000047D4: D2A24039 00026D35
	v_accvgpr_write_b32 a66, v56                               // 0000000047DC: D3D94042 18000138
	v_accvgpr_write_b32 a67, v57                               // 0000000047E4: D3D94043 18000139
	s_nop 3                                                    // 0000000047EC: BF800003
	v_mfma_f32_16x16x32_fp8_fp8 v[160:163], a[66:67], v[194:195], v[160:163]// 0000000047F0: D3F300A0 0E838542
	buffer_load_dwordx4 a[224:227], v38, s[92:95], 0 offen     // 0000000047F8: E05C1000 8097E026
	v_accvgpr_read_b32 v52, a98                                // 000000004800: D3D84034 18000162
	v_cvt_off_f32_i4_e32 v53, v52                              // 000000004808: 7E6A1D34
	v_cvt_off_f32_i4_sdwa v54, v52 dst_sel:DWORD dst_unused:UNUSED_PRESERVE src0_sel:BYTE_2// 00000000480C: 7E6C1CF9 00021634
	v_cvt_pk_fp8_f32 v56, v53, v54                             // 000000004814: D2A20038 00026D35
	v_cvt_off_f32_i4_sdwa v53, v52 dst_sel:DWORD dst_unused:UNUSED_PRESERVE src0_sel:BYTE_1// 00000000481C: 7E6A1CF9 00011634
	v_cvt_off_f32_i4_sdwa v54, v52 dst_sel:DWORD dst_unused:UNUSED_PRESERVE src0_sel:BYTE_3// 000000004824: 7E6C1CF9 00031634
	v_cvt_pk_fp8_f32 v57, v53, v54                             // 00000000482C: D2A20039 00026D35
	v_lshrrev_b32_e32 v55, 4, v52                              // 000000004834: 206E6884
	v_cvt_off_f32_i4_e32 v53, v55                              // 000000004838: 7E6A1D37
	v_cvt_off_f32_i4_sdwa v54, v55 dst_sel:DWORD dst_unused:UNUSED_PRESERVE src0_sel:BYTE_2// 00000000483C: 7E6C1CF9 00021637
	v_cvt_pk_fp8_f32 v56, v53, v54 op_sel:[0,0,1]              // 000000004844: D2A24038 00026D35
	v_cvt_off_f32_i4_sdwa v53, v55 dst_sel:DWORD dst_unused:UNUSED_PRESERVE src0_sel:BYTE_1// 00000000484C: 7E6A1CF9 00011637
	v_cvt_off_f32_i4_sdwa v54, v55 dst_sel:DWORD dst_unused:UNUSED_PRESERVE src0_sel:BYTE_3// 000000004854: 7E6C1CF9 00031637
	v_cvt_pk_fp8_f32 v57, v53, v54 op_sel:[0,0,1]              // 00000000485C: D2A24039 00026D35
	v_accvgpr_write_b32 a68, v56                               // 000000004864: D3D94044 18000138
	v_accvgpr_write_b32 a69, v57                               // 00000000486C: D3D94045 18000139
	s_nop 3                                                    // 000000004874: BF800003
	v_mfma_f32_16x16x32_fp8_fp8 v[160:163], a[68:69], v[196:197], v[160:163]// 000000004878: D3F300A0 0E838944
	v_accvgpr_read_b32 v52, a99                                // 000000004880: D3D84034 18000163
	v_cvt_off_f32_i4_e32 v53, v52                              // 000000004888: 7E6A1D34
	v_cvt_off_f32_i4_sdwa v54, v52 dst_sel:DWORD dst_unused:UNUSED_PRESERVE src0_sel:BYTE_2// 00000000488C: 7E6C1CF9 00021634
	v_cvt_pk_fp8_f32 v56, v53, v54                             // 000000004894: D2A20038 00026D35
	v_cvt_off_f32_i4_sdwa v53, v52 dst_sel:DWORD dst_unused:UNUSED_PRESERVE src0_sel:BYTE_1// 00000000489C: 7E6A1CF9 00011634
	v_cvt_off_f32_i4_sdwa v54, v52 dst_sel:DWORD dst_unused:UNUSED_PRESERVE src0_sel:BYTE_3// 0000000048A4: 7E6C1CF9 00031634
	v_cvt_pk_fp8_f32 v57, v53, v54                             // 0000000048AC: D2A20039 00026D35
	v_lshrrev_b32_e32 v55, 4, v52                              // 0000000048B4: 206E6884
	v_cvt_off_f32_i4_e32 v53, v55                              // 0000000048B8: 7E6A1D37
	v_cvt_off_f32_i4_sdwa v54, v55 dst_sel:DWORD dst_unused:UNUSED_PRESERVE src0_sel:BYTE_2// 0000000048BC: 7E6C1CF9 00021637
	v_cvt_pk_fp8_f32 v56, v53, v54 op_sel:[0,0,1]              // 0000000048C4: D2A24038 00026D35
	v_cvt_off_f32_i4_sdwa v53, v55 dst_sel:DWORD dst_unused:UNUSED_PRESERVE src0_sel:BYTE_1// 0000000048CC: 7E6A1CF9 00011637
	v_cvt_off_f32_i4_sdwa v54, v55 dst_sel:DWORD dst_unused:UNUSED_PRESERVE src0_sel:BYTE_3// 0000000048D4: 7E6C1CF9 00031637
	v_cvt_pk_fp8_f32 v57, v53, v54 op_sel:[0,0,1]              // 0000000048DC: D2A24039 00026D35
	v_accvgpr_write_b32 a70, v56                               // 0000000048E4: D3D94046 18000138
	v_accvgpr_write_b32 a71, v57                               // 0000000048EC: D3D94047 18000139
	s_nop 3                                                    // 0000000048F4: BF800003
	v_mfma_f32_16x16x32_fp8_fp8 v[160:163], a[70:71], v[198:199], v[160:163]// 0000000048F8: D3F300A0 0E838D46
	v_accvgpr_read_b32 v52, a100                               // 000000004900: D3D84034 18000164
	v_cvt_off_f32_i4_e32 v53, v52                              // 000000004908: 7E6A1D34
	v_cvt_off_f32_i4_sdwa v54, v52 dst_sel:DWORD dst_unused:UNUSED_PRESERVE src0_sel:BYTE_2// 00000000490C: 7E6C1CF9 00021634
	v_cvt_pk_fp8_f32 v56, v53, v54                             // 000000004914: D2A20038 00026D35
	v_cvt_off_f32_i4_sdwa v53, v52 dst_sel:DWORD dst_unused:UNUSED_PRESERVE src0_sel:BYTE_1// 00000000491C: 7E6A1CF9 00011634
	v_cvt_off_f32_i4_sdwa v54, v52 dst_sel:DWORD dst_unused:UNUSED_PRESERVE src0_sel:BYTE_3// 000000004924: 7E6C1CF9 00031634
	v_cvt_pk_fp8_f32 v57, v53, v54                             // 00000000492C: D2A20039 00026D35
	v_lshrrev_b32_e32 v55, 4, v52                              // 000000004934: 206E6884
	v_cvt_off_f32_i4_e32 v53, v55                              // 000000004938: 7E6A1D37
	v_cvt_off_f32_i4_sdwa v54, v55 dst_sel:DWORD dst_unused:UNUSED_PRESERVE src0_sel:BYTE_2// 00000000493C: 7E6C1CF9 00021637
	v_cvt_pk_fp8_f32 v56, v53, v54 op_sel:[0,0,1]              // 000000004944: D2A24038 00026D35
	v_cvt_off_f32_i4_sdwa v53, v55 dst_sel:DWORD dst_unused:UNUSED_PRESERVE src0_sel:BYTE_1// 00000000494C: 7E6A1CF9 00011637
	v_cvt_off_f32_i4_sdwa v54, v55 dst_sel:DWORD dst_unused:UNUSED_PRESERVE src0_sel:BYTE_3// 000000004954: 7E6C1CF9 00031637
	v_cvt_pk_fp8_f32 v57, v53, v54 op_sel:[0,0,1]              // 00000000495C: D2A24039 00026D35
	v_accvgpr_write_b32 a72, v56                               // 000000004964: D3D94048 18000138
	v_accvgpr_write_b32 a73, v57                               // 00000000496C: D3D94049 18000139
	s_nop 3                                                    // 000000004974: BF800003
	v_mfma_f32_16x16x32_fp8_fp8 v[160:163], a[72:73], v[200:201], v[160:163]// 000000004978: D3F300A0 0E839148
	v_accvgpr_read_b32 v52, a101                               // 000000004980: D3D84034 18000165
	v_cvt_off_f32_i4_e32 v53, v52                              // 000000004988: 7E6A1D34
	v_cvt_off_f32_i4_sdwa v54, v52 dst_sel:DWORD dst_unused:UNUSED_PRESERVE src0_sel:BYTE_2// 00000000498C: 7E6C1CF9 00021634
	v_cvt_pk_fp8_f32 v56, v53, v54                             // 000000004994: D2A20038 00026D35
	v_cvt_off_f32_i4_sdwa v53, v52 dst_sel:DWORD dst_unused:UNUSED_PRESERVE src0_sel:BYTE_1// 00000000499C: 7E6A1CF9 00011634
	v_cvt_off_f32_i4_sdwa v54, v52 dst_sel:DWORD dst_unused:UNUSED_PRESERVE src0_sel:BYTE_3// 0000000049A4: 7E6C1CF9 00031634
	v_cvt_pk_fp8_f32 v57, v53, v54                             // 0000000049AC: D2A20039 00026D35
	v_lshrrev_b32_e32 v55, 4, v52                              // 0000000049B4: 206E6884
	v_cvt_off_f32_i4_e32 v53, v55                              // 0000000049B8: 7E6A1D37
	v_cvt_off_f32_i4_sdwa v54, v55 dst_sel:DWORD dst_unused:UNUSED_PRESERVE src0_sel:BYTE_2// 0000000049BC: 7E6C1CF9 00021637
	v_cvt_pk_fp8_f32 v56, v53, v54 op_sel:[0,0,1]              // 0000000049C4: D2A24038 00026D35
	v_cvt_off_f32_i4_sdwa v53, v55 dst_sel:DWORD dst_unused:UNUSED_PRESERVE src0_sel:BYTE_1// 0000000049CC: 7E6A1CF9 00011637
	v_cvt_off_f32_i4_sdwa v54, v55 dst_sel:DWORD dst_unused:UNUSED_PRESERVE src0_sel:BYTE_3// 0000000049D4: 7E6C1CF9 00031637
	v_cvt_pk_fp8_f32 v57, v53, v54 op_sel:[0,0,1]              // 0000000049DC: D2A24039 00026D35
	v_accvgpr_write_b32 a74, v56                               // 0000000049E4: D3D9404A 18000138
	v_accvgpr_write_b32 a75, v57                               // 0000000049EC: D3D9404B 18000139
	s_nop 3                                                    // 0000000049F4: BF800003
	v_mfma_f32_16x16x32_fp8_fp8 v[160:163], a[74:75], v[202:203], v[160:163]// 0000000049F8: D3F300A0 0E83954A
	v_accvgpr_read_b32 v52, a102                               // 000000004A00: D3D84034 18000166
	v_cvt_off_f32_i4_e32 v53, v52                              // 000000004A08: 7E6A1D34
	v_cvt_off_f32_i4_sdwa v54, v52 dst_sel:DWORD dst_unused:UNUSED_PRESERVE src0_sel:BYTE_2// 000000004A0C: 7E6C1CF9 00021634
	v_cvt_pk_fp8_f32 v56, v53, v54                             // 000000004A14: D2A20038 00026D35
	v_cvt_off_f32_i4_sdwa v53, v52 dst_sel:DWORD dst_unused:UNUSED_PRESERVE src0_sel:BYTE_1// 000000004A1C: 7E6A1CF9 00011634
	v_cvt_off_f32_i4_sdwa v54, v52 dst_sel:DWORD dst_unused:UNUSED_PRESERVE src0_sel:BYTE_3// 000000004A24: 7E6C1CF9 00031634
	v_cvt_pk_fp8_f32 v57, v53, v54                             // 000000004A2C: D2A20039 00026D35
	v_lshrrev_b32_e32 v55, 4, v52                              // 000000004A34: 206E6884
	v_cvt_off_f32_i4_e32 v53, v55                              // 000000004A38: 7E6A1D37
	v_cvt_off_f32_i4_sdwa v54, v55 dst_sel:DWORD dst_unused:UNUSED_PRESERVE src0_sel:BYTE_2// 000000004A3C: 7E6C1CF9 00021637
	v_cvt_pk_fp8_f32 v56, v53, v54 op_sel:[0,0,1]              // 000000004A44: D2A24038 00026D35
	v_cvt_off_f32_i4_sdwa v53, v55 dst_sel:DWORD dst_unused:UNUSED_PRESERVE src0_sel:BYTE_1// 000000004A4C: 7E6A1CF9 00011637
	v_cvt_off_f32_i4_sdwa v54, v55 dst_sel:DWORD dst_unused:UNUSED_PRESERVE src0_sel:BYTE_3// 000000004A54: 7E6C1CF9 00031637
	v_cvt_pk_fp8_f32 v57, v53, v54 op_sel:[0,0,1]              // 000000004A5C: D2A24039 00026D35
	v_accvgpr_write_b32 a76, v56                               // 000000004A64: D3D9404C 18000138
	v_accvgpr_write_b32 a77, v57                               // 000000004A6C: D3D9404D 18000139
	s_nop 3                                                    // 000000004A74: BF800003
	v_mfma_f32_16x16x32_fp8_fp8 v[160:163], a[76:77], v[204:205], v[160:163]// 000000004A78: D3F300A0 0E83994C
	v_accvgpr_read_b32 v52, a103                               // 000000004A80: D3D84034 18000167
	v_cvt_off_f32_i4_e32 v53, v52                              // 000000004A88: 7E6A1D34
	v_cvt_off_f32_i4_sdwa v54, v52 dst_sel:DWORD dst_unused:UNUSED_PRESERVE src0_sel:BYTE_2// 000000004A8C: 7E6C1CF9 00021634
	v_cvt_pk_fp8_f32 v56, v53, v54                             // 000000004A94: D2A20038 00026D35
	v_cvt_off_f32_i4_sdwa v53, v52 dst_sel:DWORD dst_unused:UNUSED_PRESERVE src0_sel:BYTE_1// 000000004A9C: 7E6A1CF9 00011634
	v_cvt_off_f32_i4_sdwa v54, v52 dst_sel:DWORD dst_unused:UNUSED_PRESERVE src0_sel:BYTE_3// 000000004AA4: 7E6C1CF9 00031634
	v_cvt_pk_fp8_f32 v57, v53, v54                             // 000000004AAC: D2A20039 00026D35
	v_lshrrev_b32_e32 v55, 4, v52                              // 000000004AB4: 206E6884
	v_cvt_off_f32_i4_e32 v53, v55                              // 000000004AB8: 7E6A1D37
	v_cvt_off_f32_i4_sdwa v54, v55 dst_sel:DWORD dst_unused:UNUSED_PRESERVE src0_sel:BYTE_2// 000000004ABC: 7E6C1CF9 00021637
	v_cvt_pk_fp8_f32 v56, v53, v54 op_sel:[0,0,1]              // 000000004AC4: D2A24038 00026D35
	v_cvt_off_f32_i4_sdwa v53, v55 dst_sel:DWORD dst_unused:UNUSED_PRESERVE src0_sel:BYTE_1// 000000004ACC: 7E6A1CF9 00011637
	v_cvt_off_f32_i4_sdwa v54, v55 dst_sel:DWORD dst_unused:UNUSED_PRESERVE src0_sel:BYTE_3// 000000004AD4: 7E6C1CF9 00031637
	v_cvt_pk_fp8_f32 v57, v53, v54 op_sel:[0,0,1]              // 000000004ADC: D2A24039 00026D35
	v_accvgpr_write_b32 a78, v56                               // 000000004AE4: D3D9404E 18000138
	v_accvgpr_write_b32 a79, v57                               // 000000004AEC: D3D9404F 18000139
	s_nop 3                                                    // 000000004AF4: BF800003
	v_mfma_f32_16x16x32_fp8_fp8 v[160:163], a[78:79], v[206:207], v[160:163]// 000000004AF8: D3F300A0 0E839D4E
	v_mfma_f32_16x16x32_fp8_fp8 v[164:167], a[64:65], v[208:209], v[164:167]// 000000004B00: D3F300A4 0E93A140
	v_mfma_f32_16x16x32_fp8_fp8 v[164:167], a[66:67], v[210:211], v[164:167]// 000000004B08: D3F300A4 0E93A542
	buffer_load_dwordx4 a[228:231], v38, s[92:95], 0 offen offset:1024// 000000004B10: E05C1400 8097E426
	v_mfma_f32_16x16x32_fp8_fp8 v[164:167], a[68:69], v[212:213], v[164:167]// 000000004B18: D3F300A4 0E93A944
	v_mfma_f32_16x16x32_fp8_fp8 v[164:167], a[70:71], v[214:215], v[164:167]// 000000004B20: D3F300A4 0E93AD46
	v_mfma_f32_16x16x32_fp8_fp8 v[164:167], a[72:73], v[216:217], v[164:167]// 000000004B28: D3F300A4 0E93B148
	v_mfma_f32_16x16x32_fp8_fp8 v[164:167], a[74:75], v[218:219], v[164:167]// 000000004B30: D3F300A4 0E93B54A
	v_mfma_f32_16x16x32_fp8_fp8 v[164:167], a[76:77], v[220:221], v[164:167]// 000000004B38: D3F300A4 0E93B94C
	v_mfma_f32_16x16x32_fp8_fp8 v[164:167], a[78:79], v[222:223], v[164:167]// 000000004B40: D3F300A4 0E93BD4E
	s_waitcnt vmcnt(22)                                        // 000000004B48: BF8C4F76
	v_accvgpr_read_b32 v52, a104                               // 000000004B4C: D3D84034 18000168
	v_cvt_off_f32_i4_e32 v53, v52                              // 000000004B54: 7E6A1D34
	v_cvt_off_f32_i4_sdwa v54, v52 dst_sel:DWORD dst_unused:UNUSED_PRESERVE src0_sel:BYTE_2// 000000004B58: 7E6C1CF9 00021634
	v_cvt_pk_fp8_f32 v56, v53, v54                             // 000000004B60: D2A20038 00026D35
	v_cvt_off_f32_i4_sdwa v53, v52 dst_sel:DWORD dst_unused:UNUSED_PRESERVE src0_sel:BYTE_1// 000000004B68: 7E6A1CF9 00011634
	v_cvt_off_f32_i4_sdwa v54, v52 dst_sel:DWORD dst_unused:UNUSED_PRESERVE src0_sel:BYTE_3// 000000004B70: 7E6C1CF9 00031634
	v_cvt_pk_fp8_f32 v57, v53, v54                             // 000000004B78: D2A20039 00026D35
	v_lshrrev_b32_e32 v55, 4, v52                              // 000000004B80: 206E6884
	v_cvt_off_f32_i4_e32 v53, v55                              // 000000004B84: 7E6A1D37
	v_cvt_off_f32_i4_sdwa v54, v55 dst_sel:DWORD dst_unused:UNUSED_PRESERVE src0_sel:BYTE_2// 000000004B88: 7E6C1CF9 00021637
	v_cvt_pk_fp8_f32 v56, v53, v54 op_sel:[0,0,1]              // 000000004B90: D2A24038 00026D35
	v_cvt_off_f32_i4_sdwa v53, v55 dst_sel:DWORD dst_unused:UNUSED_PRESERVE src0_sel:BYTE_1// 000000004B98: 7E6A1CF9 00011637
	v_cvt_off_f32_i4_sdwa v54, v55 dst_sel:DWORD dst_unused:UNUSED_PRESERVE src0_sel:BYTE_3// 000000004BA0: 7E6C1CF9 00031637
	v_cvt_pk_fp8_f32 v57, v53, v54 op_sel:[0,0,1]              // 000000004BA8: D2A24039 00026D35
	v_accvgpr_write_b32 a80, v56                               // 000000004BB0: D3D94050 18000138
	v_accvgpr_write_b32 a81, v57                               // 000000004BB8: D3D94051 18000139
	s_nop 3                                                    // 000000004BC0: BF800003
	v_mfma_f32_16x16x32_fp8_fp8 v[168:171], a[80:81], v[192:193], v[168:171]// 000000004BC4: D3F300A8 0EA38150
	v_accvgpr_read_b32 v52, a105                               // 000000004BCC: D3D84034 18000169
	v_cvt_off_f32_i4_e32 v53, v52                              // 000000004BD4: 7E6A1D34
	v_cvt_off_f32_i4_sdwa v54, v52 dst_sel:DWORD dst_unused:UNUSED_PRESERVE src0_sel:BYTE_2// 000000004BD8: 7E6C1CF9 00021634
	v_cvt_pk_fp8_f32 v56, v53, v54                             // 000000004BE0: D2A20038 00026D35
	v_cvt_off_f32_i4_sdwa v53, v52 dst_sel:DWORD dst_unused:UNUSED_PRESERVE src0_sel:BYTE_1// 000000004BE8: 7E6A1CF9 00011634
	v_cvt_off_f32_i4_sdwa v54, v52 dst_sel:DWORD dst_unused:UNUSED_PRESERVE src0_sel:BYTE_3// 000000004BF0: 7E6C1CF9 00031634
	v_cvt_pk_fp8_f32 v57, v53, v54                             // 000000004BF8: D2A20039 00026D35
	v_lshrrev_b32_e32 v55, 4, v52                              // 000000004C00: 206E6884
	v_cvt_off_f32_i4_e32 v53, v55                              // 000000004C04: 7E6A1D37
	v_cvt_off_f32_i4_sdwa v54, v55 dst_sel:DWORD dst_unused:UNUSED_PRESERVE src0_sel:BYTE_2// 000000004C08: 7E6C1CF9 00021637
	v_cvt_pk_fp8_f32 v56, v53, v54 op_sel:[0,0,1]              // 000000004C10: D2A24038 00026D35
	v_cvt_off_f32_i4_sdwa v53, v55 dst_sel:DWORD dst_unused:UNUSED_PRESERVE src0_sel:BYTE_1// 000000004C18: 7E6A1CF9 00011637
	v_cvt_off_f32_i4_sdwa v54, v55 dst_sel:DWORD dst_unused:UNUSED_PRESERVE src0_sel:BYTE_3// 000000004C20: 7E6C1CF9 00031637
	v_cvt_pk_fp8_f32 v57, v53, v54 op_sel:[0,0,1]              // 000000004C28: D2A24039 00026D35
	v_accvgpr_write_b32 a82, v56                               // 000000004C30: D3D94052 18000138
	v_accvgpr_write_b32 a83, v57                               // 000000004C38: D3D94053 18000139
	s_nop 3                                                    // 000000004C40: BF800003
	v_mfma_f32_16x16x32_fp8_fp8 v[168:171], a[82:83], v[194:195], v[168:171]// 000000004C44: D3F300A8 0EA38552
	buffer_load_dwordx4 a[232:235], v39, s[92:95], 0 offen     // 000000004C4C: E05C1000 8097E827
	v_accvgpr_read_b32 v52, a106                               // 000000004C54: D3D84034 1800016A
	v_cvt_off_f32_i4_e32 v53, v52                              // 000000004C5C: 7E6A1D34
	v_cvt_off_f32_i4_sdwa v54, v52 dst_sel:DWORD dst_unused:UNUSED_PRESERVE src0_sel:BYTE_2// 000000004C60: 7E6C1CF9 00021634
	v_cvt_pk_fp8_f32 v56, v53, v54                             // 000000004C68: D2A20038 00026D35
	v_cvt_off_f32_i4_sdwa v53, v52 dst_sel:DWORD dst_unused:UNUSED_PRESERVE src0_sel:BYTE_1// 000000004C70: 7E6A1CF9 00011634
	v_cvt_off_f32_i4_sdwa v54, v52 dst_sel:DWORD dst_unused:UNUSED_PRESERVE src0_sel:BYTE_3// 000000004C78: 7E6C1CF9 00031634
	v_cvt_pk_fp8_f32 v57, v53, v54                             // 000000004C80: D2A20039 00026D35
	v_lshrrev_b32_e32 v55, 4, v52                              // 000000004C88: 206E6884
	v_cvt_off_f32_i4_e32 v53, v55                              // 000000004C8C: 7E6A1D37
	v_cvt_off_f32_i4_sdwa v54, v55 dst_sel:DWORD dst_unused:UNUSED_PRESERVE src0_sel:BYTE_2// 000000004C90: 7E6C1CF9 00021637
	v_cvt_pk_fp8_f32 v56, v53, v54 op_sel:[0,0,1]              // 000000004C98: D2A24038 00026D35
	v_cvt_off_f32_i4_sdwa v53, v55 dst_sel:DWORD dst_unused:UNUSED_PRESERVE src0_sel:BYTE_1// 000000004CA0: 7E6A1CF9 00011637
	v_cvt_off_f32_i4_sdwa v54, v55 dst_sel:DWORD dst_unused:UNUSED_PRESERVE src0_sel:BYTE_3// 000000004CA8: 7E6C1CF9 00031637
	v_cvt_pk_fp8_f32 v57, v53, v54 op_sel:[0,0,1]              // 000000004CB0: D2A24039 00026D35
	v_accvgpr_write_b32 a84, v56                               // 000000004CB8: D3D94054 18000138
	v_accvgpr_write_b32 a85, v57                               // 000000004CC0: D3D94055 18000139
	s_nop 3                                                    // 000000004CC8: BF800003
	v_mfma_f32_16x16x32_fp8_fp8 v[168:171], a[84:85], v[196:197], v[168:171]// 000000004CCC: D3F300A8 0EA38954
	v_accvgpr_read_b32 v52, a107                               // 000000004CD4: D3D84034 1800016B
	v_cvt_off_f32_i4_e32 v53, v52                              // 000000004CDC: 7E6A1D34
	v_cvt_off_f32_i4_sdwa v54, v52 dst_sel:DWORD dst_unused:UNUSED_PRESERVE src0_sel:BYTE_2// 000000004CE0: 7E6C1CF9 00021634
	v_cvt_pk_fp8_f32 v56, v53, v54                             // 000000004CE8: D2A20038 00026D35
	v_cvt_off_f32_i4_sdwa v53, v52 dst_sel:DWORD dst_unused:UNUSED_PRESERVE src0_sel:BYTE_1// 000000004CF0: 7E6A1CF9 00011634
	v_cvt_off_f32_i4_sdwa v54, v52 dst_sel:DWORD dst_unused:UNUSED_PRESERVE src0_sel:BYTE_3// 000000004CF8: 7E6C1CF9 00031634
	v_cvt_pk_fp8_f32 v57, v53, v54                             // 000000004D00: D2A20039 00026D35
	v_lshrrev_b32_e32 v55, 4, v52                              // 000000004D08: 206E6884
	v_cvt_off_f32_i4_e32 v53, v55                              // 000000004D0C: 7E6A1D37
	v_cvt_off_f32_i4_sdwa v54, v55 dst_sel:DWORD dst_unused:UNUSED_PRESERVE src0_sel:BYTE_2// 000000004D10: 7E6C1CF9 00021637
	v_cvt_pk_fp8_f32 v56, v53, v54 op_sel:[0,0,1]              // 000000004D18: D2A24038 00026D35
	v_cvt_off_f32_i4_sdwa v53, v55 dst_sel:DWORD dst_unused:UNUSED_PRESERVE src0_sel:BYTE_1// 000000004D20: 7E6A1CF9 00011637
	v_cvt_off_f32_i4_sdwa v54, v55 dst_sel:DWORD dst_unused:UNUSED_PRESERVE src0_sel:BYTE_3// 000000004D28: 7E6C1CF9 00031637
	v_cvt_pk_fp8_f32 v57, v53, v54 op_sel:[0,0,1]              // 000000004D30: D2A24039 00026D35
	v_accvgpr_write_b32 a86, v56                               // 000000004D38: D3D94056 18000138
	v_accvgpr_write_b32 a87, v57                               // 000000004D40: D3D94057 18000139
	s_nop 3                                                    // 000000004D48: BF800003
	v_mfma_f32_16x16x32_fp8_fp8 v[168:171], a[86:87], v[198:199], v[168:171]// 000000004D4C: D3F300A8 0EA38D56
	v_accvgpr_read_b32 v52, a108                               // 000000004D54: D3D84034 1800016C
	v_cvt_off_f32_i4_e32 v53, v52                              // 000000004D5C: 7E6A1D34
	v_cvt_off_f32_i4_sdwa v54, v52 dst_sel:DWORD dst_unused:UNUSED_PRESERVE src0_sel:BYTE_2// 000000004D60: 7E6C1CF9 00021634
	v_cvt_pk_fp8_f32 v56, v53, v54                             // 000000004D68: D2A20038 00026D35
	v_cvt_off_f32_i4_sdwa v53, v52 dst_sel:DWORD dst_unused:UNUSED_PRESERVE src0_sel:BYTE_1// 000000004D70: 7E6A1CF9 00011634
	v_cvt_off_f32_i4_sdwa v54, v52 dst_sel:DWORD dst_unused:UNUSED_PRESERVE src0_sel:BYTE_3// 000000004D78: 7E6C1CF9 00031634
	v_cvt_pk_fp8_f32 v57, v53, v54                             // 000000004D80: D2A20039 00026D35
	v_lshrrev_b32_e32 v55, 4, v52                              // 000000004D88: 206E6884
	v_cvt_off_f32_i4_e32 v53, v55                              // 000000004D8C: 7E6A1D37
	v_cvt_off_f32_i4_sdwa v54, v55 dst_sel:DWORD dst_unused:UNUSED_PRESERVE src0_sel:BYTE_2// 000000004D90: 7E6C1CF9 00021637
	v_cvt_pk_fp8_f32 v56, v53, v54 op_sel:[0,0,1]              // 000000004D98: D2A24038 00026D35
	v_cvt_off_f32_i4_sdwa v53, v55 dst_sel:DWORD dst_unused:UNUSED_PRESERVE src0_sel:BYTE_1// 000000004DA0: 7E6A1CF9 00011637
	v_cvt_off_f32_i4_sdwa v54, v55 dst_sel:DWORD dst_unused:UNUSED_PRESERVE src0_sel:BYTE_3// 000000004DA8: 7E6C1CF9 00031637
	v_cvt_pk_fp8_f32 v57, v53, v54 op_sel:[0,0,1]              // 000000004DB0: D2A24039 00026D35
	v_accvgpr_write_b32 a88, v56                               // 000000004DB8: D3D94058 18000138
	v_accvgpr_write_b32 a89, v57                               // 000000004DC0: D3D94059 18000139
	s_nop 3                                                    // 000000004DC8: BF800003
	v_mfma_f32_16x16x32_fp8_fp8 v[168:171], a[88:89], v[200:201], v[168:171]// 000000004DCC: D3F300A8 0EA39158
	v_accvgpr_read_b32 v52, a109                               // 000000004DD4: D3D84034 1800016D
	v_cvt_off_f32_i4_e32 v53, v52                              // 000000004DDC: 7E6A1D34
	v_cvt_off_f32_i4_sdwa v54, v52 dst_sel:DWORD dst_unused:UNUSED_PRESERVE src0_sel:BYTE_2// 000000004DE0: 7E6C1CF9 00021634
	v_cvt_pk_fp8_f32 v56, v53, v54                             // 000000004DE8: D2A20038 00026D35
	v_cvt_off_f32_i4_sdwa v53, v52 dst_sel:DWORD dst_unused:UNUSED_PRESERVE src0_sel:BYTE_1// 000000004DF0: 7E6A1CF9 00011634
	v_cvt_off_f32_i4_sdwa v54, v52 dst_sel:DWORD dst_unused:UNUSED_PRESERVE src0_sel:BYTE_3// 000000004DF8: 7E6C1CF9 00031634
	v_cvt_pk_fp8_f32 v57, v53, v54                             // 000000004E00: D2A20039 00026D35
	v_lshrrev_b32_e32 v55, 4, v52                              // 000000004E08: 206E6884
	v_cvt_off_f32_i4_e32 v53, v55                              // 000000004E0C: 7E6A1D37
	v_cvt_off_f32_i4_sdwa v54, v55 dst_sel:DWORD dst_unused:UNUSED_PRESERVE src0_sel:BYTE_2// 000000004E10: 7E6C1CF9 00021637
	v_cvt_pk_fp8_f32 v56, v53, v54 op_sel:[0,0,1]              // 000000004E18: D2A24038 00026D35
	v_cvt_off_f32_i4_sdwa v53, v55 dst_sel:DWORD dst_unused:UNUSED_PRESERVE src0_sel:BYTE_1// 000000004E20: 7E6A1CF9 00011637
	v_cvt_off_f32_i4_sdwa v54, v55 dst_sel:DWORD dst_unused:UNUSED_PRESERVE src0_sel:BYTE_3// 000000004E28: 7E6C1CF9 00031637
	v_cvt_pk_fp8_f32 v57, v53, v54 op_sel:[0,0,1]              // 000000004E30: D2A24039 00026D35
	v_accvgpr_write_b32 a90, v56                               // 000000004E38: D3D9405A 18000138
	v_accvgpr_write_b32 a91, v57                               // 000000004E40: D3D9405B 18000139
	s_nop 3                                                    // 000000004E48: BF800003
	v_mfma_f32_16x16x32_fp8_fp8 v[168:171], a[90:91], v[202:203], v[168:171]// 000000004E4C: D3F300A8 0EA3955A
	v_accvgpr_read_b32 v52, a110                               // 000000004E54: D3D84034 1800016E
	v_cvt_off_f32_i4_e32 v53, v52                              // 000000004E5C: 7E6A1D34
	v_cvt_off_f32_i4_sdwa v54, v52 dst_sel:DWORD dst_unused:UNUSED_PRESERVE src0_sel:BYTE_2// 000000004E60: 7E6C1CF9 00021634
	v_cvt_pk_fp8_f32 v56, v53, v54                             // 000000004E68: D2A20038 00026D35
	v_cvt_off_f32_i4_sdwa v53, v52 dst_sel:DWORD dst_unused:UNUSED_PRESERVE src0_sel:BYTE_1// 000000004E70: 7E6A1CF9 00011634
	v_cvt_off_f32_i4_sdwa v54, v52 dst_sel:DWORD dst_unused:UNUSED_PRESERVE src0_sel:BYTE_3// 000000004E78: 7E6C1CF9 00031634
	v_cvt_pk_fp8_f32 v57, v53, v54                             // 000000004E80: D2A20039 00026D35
	v_lshrrev_b32_e32 v55, 4, v52                              // 000000004E88: 206E6884
	v_cvt_off_f32_i4_e32 v53, v55                              // 000000004E8C: 7E6A1D37
	v_cvt_off_f32_i4_sdwa v54, v55 dst_sel:DWORD dst_unused:UNUSED_PRESERVE src0_sel:BYTE_2// 000000004E90: 7E6C1CF9 00021637
	v_cvt_pk_fp8_f32 v56, v53, v54 op_sel:[0,0,1]              // 000000004E98: D2A24038 00026D35
	v_cvt_off_f32_i4_sdwa v53, v55 dst_sel:DWORD dst_unused:UNUSED_PRESERVE src0_sel:BYTE_1// 000000004EA0: 7E6A1CF9 00011637
	v_cvt_off_f32_i4_sdwa v54, v55 dst_sel:DWORD dst_unused:UNUSED_PRESERVE src0_sel:BYTE_3// 000000004EA8: 7E6C1CF9 00031637
	v_cvt_pk_fp8_f32 v57, v53, v54 op_sel:[0,0,1]              // 000000004EB0: D2A24039 00026D35
	v_accvgpr_write_b32 a92, v56                               // 000000004EB8: D3D9405C 18000138
	v_accvgpr_write_b32 a93, v57                               // 000000004EC0: D3D9405D 18000139
	s_nop 3                                                    // 000000004EC8: BF800003
	v_mfma_f32_16x16x32_fp8_fp8 v[168:171], a[92:93], v[204:205], v[168:171]// 000000004ECC: D3F300A8 0EA3995C
	v_accvgpr_read_b32 v52, a111                               // 000000004ED4: D3D84034 1800016F
	v_cvt_off_f32_i4_e32 v53, v52                              // 000000004EDC: 7E6A1D34
	v_cvt_off_f32_i4_sdwa v54, v52 dst_sel:DWORD dst_unused:UNUSED_PRESERVE src0_sel:BYTE_2// 000000004EE0: 7E6C1CF9 00021634
	v_cvt_pk_fp8_f32 v56, v53, v54                             // 000000004EE8: D2A20038 00026D35
	v_cvt_off_f32_i4_sdwa v53, v52 dst_sel:DWORD dst_unused:UNUSED_PRESERVE src0_sel:BYTE_1// 000000004EF0: 7E6A1CF9 00011634
	v_cvt_off_f32_i4_sdwa v54, v52 dst_sel:DWORD dst_unused:UNUSED_PRESERVE src0_sel:BYTE_3// 000000004EF8: 7E6C1CF9 00031634
	v_cvt_pk_fp8_f32 v57, v53, v54                             // 000000004F00: D2A20039 00026D35
	v_lshrrev_b32_e32 v55, 4, v52                              // 000000004F08: 206E6884
	v_cvt_off_f32_i4_e32 v53, v55                              // 000000004F0C: 7E6A1D37
	v_cvt_off_f32_i4_sdwa v54, v55 dst_sel:DWORD dst_unused:UNUSED_PRESERVE src0_sel:BYTE_2// 000000004F10: 7E6C1CF9 00021637
	v_cvt_pk_fp8_f32 v56, v53, v54 op_sel:[0,0,1]              // 000000004F18: D2A24038 00026D35
	v_cvt_off_f32_i4_sdwa v53, v55 dst_sel:DWORD dst_unused:UNUSED_PRESERVE src0_sel:BYTE_1// 000000004F20: 7E6A1CF9 00011637
	v_cvt_off_f32_i4_sdwa v54, v55 dst_sel:DWORD dst_unused:UNUSED_PRESERVE src0_sel:BYTE_3// 000000004F28: 7E6C1CF9 00031637
	v_cvt_pk_fp8_f32 v57, v53, v54 op_sel:[0,0,1]              // 000000004F30: D2A24039 00026D35
	v_accvgpr_write_b32 a94, v56                               // 000000004F38: D3D9405E 18000138
	v_accvgpr_write_b32 a95, v57                               // 000000004F40: D3D9405F 18000139
	s_nop 3                                                    // 000000004F48: BF800003
	v_mfma_f32_16x16x32_fp8_fp8 v[168:171], a[94:95], v[206:207], v[168:171]// 000000004F4C: D3F300A8 0EA39D5E
	v_mfma_f32_16x16x32_fp8_fp8 v[172:175], a[80:81], v[208:209], v[172:175]// 000000004F54: D3F300AC 0EB3A150
	v_mfma_f32_16x16x32_fp8_fp8 v[172:175], a[82:83], v[210:211], v[172:175]// 000000004F5C: D3F300AC 0EB3A552
	buffer_load_dwordx4 a[236:239], v39, s[92:95], 0 offen offset:1024// 000000004F64: E05C1400 8097EC27
	v_mfma_f32_16x16x32_fp8_fp8 v[172:175], a[84:85], v[212:213], v[172:175]// 000000004F6C: D3F300AC 0EB3A954
	v_mfma_f32_16x16x32_fp8_fp8 v[172:175], a[86:87], v[214:215], v[172:175]// 000000004F74: D3F300AC 0EB3AD56
	v_mfma_f32_16x16x32_fp8_fp8 v[172:175], a[88:89], v[216:217], v[172:175]// 000000004F7C: D3F300AC 0EB3B158
	v_mfma_f32_16x16x32_fp8_fp8 v[172:175], a[90:91], v[218:219], v[172:175]// 000000004F84: D3F300AC 0EB3B55A
	v_mfma_f32_16x16x32_fp8_fp8 v[172:175], a[92:93], v[220:221], v[172:175]// 000000004F8C: D3F300AC 0EB3B95C
	v_mfma_f32_16x16x32_fp8_fp8 v[172:175], a[94:95], v[222:223], v[172:175]// 000000004F94: D3F300AC 0EB3BD5E
	s_waitcnt vmcnt(22)                                        // 000000004F9C: BF8C4F76
	v_accvgpr_read_b32 v52, a112                               // 000000004FA0: D3D84034 18000170
	v_cvt_off_f32_i4_e32 v53, v52                              // 000000004FA8: 7E6A1D34
	v_cvt_off_f32_i4_sdwa v54, v52 dst_sel:DWORD dst_unused:UNUSED_PRESERVE src0_sel:BYTE_2// 000000004FAC: 7E6C1CF9 00021634
	v_cvt_pk_fp8_f32 v56, v53, v54                             // 000000004FB4: D2A20038 00026D35
	v_cvt_off_f32_i4_sdwa v53, v52 dst_sel:DWORD dst_unused:UNUSED_PRESERVE src0_sel:BYTE_1// 000000004FBC: 7E6A1CF9 00011634
	v_cvt_off_f32_i4_sdwa v54, v52 dst_sel:DWORD dst_unused:UNUSED_PRESERVE src0_sel:BYTE_3// 000000004FC4: 7E6C1CF9 00031634
	v_cvt_pk_fp8_f32 v57, v53, v54                             // 000000004FCC: D2A20039 00026D35
	v_lshrrev_b32_e32 v55, 4, v52                              // 000000004FD4: 206E6884
	v_cvt_off_f32_i4_e32 v53, v55                              // 000000004FD8: 7E6A1D37
	v_cvt_off_f32_i4_sdwa v54, v55 dst_sel:DWORD dst_unused:UNUSED_PRESERVE src0_sel:BYTE_2// 000000004FDC: 7E6C1CF9 00021637
	v_cvt_pk_fp8_f32 v56, v53, v54 op_sel:[0,0,1]              // 000000004FE4: D2A24038 00026D35
	v_cvt_off_f32_i4_sdwa v53, v55 dst_sel:DWORD dst_unused:UNUSED_PRESERVE src0_sel:BYTE_1// 000000004FEC: 7E6A1CF9 00011637
	v_cvt_off_f32_i4_sdwa v54, v55 dst_sel:DWORD dst_unused:UNUSED_PRESERVE src0_sel:BYTE_3// 000000004FF4: 7E6C1CF9 00031637
	v_cvt_pk_fp8_f32 v57, v53, v54 op_sel:[0,0,1]              // 000000004FFC: D2A24039 00026D35
	v_accvgpr_write_b32 a96, v56                               // 000000005004: D3D94060 18000138
	v_accvgpr_write_b32 a97, v57                               // 00000000500C: D3D94061 18000139
	s_nop 3                                                    // 000000005014: BF800003
	v_mfma_f32_16x16x32_fp8_fp8 v[176:179], a[96:97], v[192:193], v[176:179]// 000000005018: D3F300B0 0EC38160
	v_accvgpr_read_b32 v52, a113                               // 000000005020: D3D84034 18000171
	v_cvt_off_f32_i4_e32 v53, v52                              // 000000005028: 7E6A1D34
	v_cvt_off_f32_i4_sdwa v54, v52 dst_sel:DWORD dst_unused:UNUSED_PRESERVE src0_sel:BYTE_2// 00000000502C: 7E6C1CF9 00021634
	v_cvt_pk_fp8_f32 v56, v53, v54                             // 000000005034: D2A20038 00026D35
	v_cvt_off_f32_i4_sdwa v53, v52 dst_sel:DWORD dst_unused:UNUSED_PRESERVE src0_sel:BYTE_1// 00000000503C: 7E6A1CF9 00011634
	v_cvt_off_f32_i4_sdwa v54, v52 dst_sel:DWORD dst_unused:UNUSED_PRESERVE src0_sel:BYTE_3// 000000005044: 7E6C1CF9 00031634
	v_cvt_pk_fp8_f32 v57, v53, v54                             // 00000000504C: D2A20039 00026D35
	v_lshrrev_b32_e32 v55, 4, v52                              // 000000005054: 206E6884
	v_cvt_off_f32_i4_e32 v53, v55                              // 000000005058: 7E6A1D37
	v_cvt_off_f32_i4_sdwa v54, v55 dst_sel:DWORD dst_unused:UNUSED_PRESERVE src0_sel:BYTE_2// 00000000505C: 7E6C1CF9 00021637
	v_cvt_pk_fp8_f32 v56, v53, v54 op_sel:[0,0,1]              // 000000005064: D2A24038 00026D35
	v_cvt_off_f32_i4_sdwa v53, v55 dst_sel:DWORD dst_unused:UNUSED_PRESERVE src0_sel:BYTE_1// 00000000506C: 7E6A1CF9 00011637
	v_cvt_off_f32_i4_sdwa v54, v55 dst_sel:DWORD dst_unused:UNUSED_PRESERVE src0_sel:BYTE_3// 000000005074: 7E6C1CF9 00031637
	v_cvt_pk_fp8_f32 v57, v53, v54 op_sel:[0,0,1]              // 00000000507C: D2A24039 00026D35
	v_accvgpr_write_b32 a98, v56                               // 000000005084: D3D94062 18000138
	v_accvgpr_write_b32 a99, v57                               // 00000000508C: D3D94063 18000139
	s_nop 3                                                    // 000000005094: BF800003
	v_mfma_f32_16x16x32_fp8_fp8 v[176:179], a[98:99], v[194:195], v[176:179]// 000000005098: D3F300B0 0EC38562
	buffer_load_dwordx4 a[240:243], v40, s[92:95], 0 offen     // 0000000050A0: E05C1000 8097F028
	v_accvgpr_read_b32 v52, a114                               // 0000000050A8: D3D84034 18000172
	v_cvt_off_f32_i4_e32 v53, v52                              // 0000000050B0: 7E6A1D34
	v_cvt_off_f32_i4_sdwa v54, v52 dst_sel:DWORD dst_unused:UNUSED_PRESERVE src0_sel:BYTE_2// 0000000050B4: 7E6C1CF9 00021634
	v_cvt_pk_fp8_f32 v56, v53, v54                             // 0000000050BC: D2A20038 00026D35
	v_cvt_off_f32_i4_sdwa v53, v52 dst_sel:DWORD dst_unused:UNUSED_PRESERVE src0_sel:BYTE_1// 0000000050C4: 7E6A1CF9 00011634
	v_cvt_off_f32_i4_sdwa v54, v52 dst_sel:DWORD dst_unused:UNUSED_PRESERVE src0_sel:BYTE_3// 0000000050CC: 7E6C1CF9 00031634
	v_cvt_pk_fp8_f32 v57, v53, v54                             // 0000000050D4: D2A20039 00026D35
	v_lshrrev_b32_e32 v55, 4, v52                              // 0000000050DC: 206E6884
	v_cvt_off_f32_i4_e32 v53, v55                              // 0000000050E0: 7E6A1D37
	v_cvt_off_f32_i4_sdwa v54, v55 dst_sel:DWORD dst_unused:UNUSED_PRESERVE src0_sel:BYTE_2// 0000000050E4: 7E6C1CF9 00021637
	v_cvt_pk_fp8_f32 v56, v53, v54 op_sel:[0,0,1]              // 0000000050EC: D2A24038 00026D35
	v_cvt_off_f32_i4_sdwa v53, v55 dst_sel:DWORD dst_unused:UNUSED_PRESERVE src0_sel:BYTE_1// 0000000050F4: 7E6A1CF9 00011637
	v_cvt_off_f32_i4_sdwa v54, v55 dst_sel:DWORD dst_unused:UNUSED_PRESERVE src0_sel:BYTE_3// 0000000050FC: 7E6C1CF9 00031637
	v_cvt_pk_fp8_f32 v57, v53, v54 op_sel:[0,0,1]              // 000000005104: D2A24039 00026D35
	v_accvgpr_write_b32 a100, v56                              // 00000000510C: D3D94064 18000138
	v_accvgpr_write_b32 a101, v57                              // 000000005114: D3D94065 18000139
	s_nop 3                                                    // 00000000511C: BF800003
	v_mfma_f32_16x16x32_fp8_fp8 v[176:179], a[100:101], v[196:197], v[176:179]// 000000005120: D3F300B0 0EC38964
	v_accvgpr_read_b32 v52, a115                               // 000000005128: D3D84034 18000173
	v_cvt_off_f32_i4_e32 v53, v52                              // 000000005130: 7E6A1D34
	v_cvt_off_f32_i4_sdwa v54, v52 dst_sel:DWORD dst_unused:UNUSED_PRESERVE src0_sel:BYTE_2// 000000005134: 7E6C1CF9 00021634
	v_cvt_pk_fp8_f32 v56, v53, v54                             // 00000000513C: D2A20038 00026D35
	v_cvt_off_f32_i4_sdwa v53, v52 dst_sel:DWORD dst_unused:UNUSED_PRESERVE src0_sel:BYTE_1// 000000005144: 7E6A1CF9 00011634
	v_cvt_off_f32_i4_sdwa v54, v52 dst_sel:DWORD dst_unused:UNUSED_PRESERVE src0_sel:BYTE_3// 00000000514C: 7E6C1CF9 00031634
	v_cvt_pk_fp8_f32 v57, v53, v54                             // 000000005154: D2A20039 00026D35
	v_lshrrev_b32_e32 v55, 4, v52                              // 00000000515C: 206E6884
	v_cvt_off_f32_i4_e32 v53, v55                              // 000000005160: 7E6A1D37
	v_cvt_off_f32_i4_sdwa v54, v55 dst_sel:DWORD dst_unused:UNUSED_PRESERVE src0_sel:BYTE_2// 000000005164: 7E6C1CF9 00021637
	v_cvt_pk_fp8_f32 v56, v53, v54 op_sel:[0,0,1]              // 00000000516C: D2A24038 00026D35
	v_cvt_off_f32_i4_sdwa v53, v55 dst_sel:DWORD dst_unused:UNUSED_PRESERVE src0_sel:BYTE_1// 000000005174: 7E6A1CF9 00011637
	v_cvt_off_f32_i4_sdwa v54, v55 dst_sel:DWORD dst_unused:UNUSED_PRESERVE src0_sel:BYTE_3// 00000000517C: 7E6C1CF9 00031637
	v_cvt_pk_fp8_f32 v57, v53, v54 op_sel:[0,0,1]              // 000000005184: D2A24039 00026D35
	v_accvgpr_write_b32 a102, v56                              // 00000000518C: D3D94066 18000138
	v_accvgpr_write_b32 a103, v57                              // 000000005194: D3D94067 18000139
	s_nop 3                                                    // 00000000519C: BF800003
	v_mfma_f32_16x16x32_fp8_fp8 v[176:179], a[102:103], v[198:199], v[176:179]// 0000000051A0: D3F300B0 0EC38D66
	v_accvgpr_read_b32 v52, a116                               // 0000000051A8: D3D84034 18000174
	v_cvt_off_f32_i4_e32 v53, v52                              // 0000000051B0: 7E6A1D34
	v_cvt_off_f32_i4_sdwa v54, v52 dst_sel:DWORD dst_unused:UNUSED_PRESERVE src0_sel:BYTE_2// 0000000051B4: 7E6C1CF9 00021634
	v_cvt_pk_fp8_f32 v56, v53, v54                             // 0000000051BC: D2A20038 00026D35
	v_cvt_off_f32_i4_sdwa v53, v52 dst_sel:DWORD dst_unused:UNUSED_PRESERVE src0_sel:BYTE_1// 0000000051C4: 7E6A1CF9 00011634
	v_cvt_off_f32_i4_sdwa v54, v52 dst_sel:DWORD dst_unused:UNUSED_PRESERVE src0_sel:BYTE_3// 0000000051CC: 7E6C1CF9 00031634
	v_cvt_pk_fp8_f32 v57, v53, v54                             // 0000000051D4: D2A20039 00026D35
	v_lshrrev_b32_e32 v55, 4, v52                              // 0000000051DC: 206E6884
	v_cvt_off_f32_i4_e32 v53, v55                              // 0000000051E0: 7E6A1D37
	v_cvt_off_f32_i4_sdwa v54, v55 dst_sel:DWORD dst_unused:UNUSED_PRESERVE src0_sel:BYTE_2// 0000000051E4: 7E6C1CF9 00021637
	v_cvt_pk_fp8_f32 v56, v53, v54 op_sel:[0,0,1]              // 0000000051EC: D2A24038 00026D35
	v_cvt_off_f32_i4_sdwa v53, v55 dst_sel:DWORD dst_unused:UNUSED_PRESERVE src0_sel:BYTE_1// 0000000051F4: 7E6A1CF9 00011637
	v_cvt_off_f32_i4_sdwa v54, v55 dst_sel:DWORD dst_unused:UNUSED_PRESERVE src0_sel:BYTE_3// 0000000051FC: 7E6C1CF9 00031637
	v_cvt_pk_fp8_f32 v57, v53, v54 op_sel:[0,0,1]              // 000000005204: D2A24039 00026D35
	v_accvgpr_write_b32 a104, v56                              // 00000000520C: D3D94068 18000138
	v_accvgpr_write_b32 a105, v57                              // 000000005214: D3D94069 18000139
	s_nop 3                                                    // 00000000521C: BF800003
	v_mfma_f32_16x16x32_fp8_fp8 v[176:179], a[104:105], v[200:201], v[176:179]// 000000005220: D3F300B0 0EC39168
	v_accvgpr_read_b32 v52, a117                               // 000000005228: D3D84034 18000175
	v_cvt_off_f32_i4_e32 v53, v52                              // 000000005230: 7E6A1D34
	v_cvt_off_f32_i4_sdwa v54, v52 dst_sel:DWORD dst_unused:UNUSED_PRESERVE src0_sel:BYTE_2// 000000005234: 7E6C1CF9 00021634
	v_cvt_pk_fp8_f32 v56, v53, v54                             // 00000000523C: D2A20038 00026D35
	v_cvt_off_f32_i4_sdwa v53, v52 dst_sel:DWORD dst_unused:UNUSED_PRESERVE src0_sel:BYTE_1// 000000005244: 7E6A1CF9 00011634
	v_cvt_off_f32_i4_sdwa v54, v52 dst_sel:DWORD dst_unused:UNUSED_PRESERVE src0_sel:BYTE_3// 00000000524C: 7E6C1CF9 00031634
	v_cvt_pk_fp8_f32 v57, v53, v54                             // 000000005254: D2A20039 00026D35
	v_lshrrev_b32_e32 v55, 4, v52                              // 00000000525C: 206E6884
	v_cvt_off_f32_i4_e32 v53, v55                              // 000000005260: 7E6A1D37
	v_cvt_off_f32_i4_sdwa v54, v55 dst_sel:DWORD dst_unused:UNUSED_PRESERVE src0_sel:BYTE_2// 000000005264: 7E6C1CF9 00021637
	v_cvt_pk_fp8_f32 v56, v53, v54 op_sel:[0,0,1]              // 00000000526C: D2A24038 00026D35
	v_cvt_off_f32_i4_sdwa v53, v55 dst_sel:DWORD dst_unused:UNUSED_PRESERVE src0_sel:BYTE_1// 000000005274: 7E6A1CF9 00011637
	v_cvt_off_f32_i4_sdwa v54, v55 dst_sel:DWORD dst_unused:UNUSED_PRESERVE src0_sel:BYTE_3// 00000000527C: 7E6C1CF9 00031637
	v_cvt_pk_fp8_f32 v57, v53, v54 op_sel:[0,0,1]              // 000000005284: D2A24039 00026D35
	v_accvgpr_write_b32 a106, v56                              // 00000000528C: D3D9406A 18000138
	v_accvgpr_write_b32 a107, v57                              // 000000005294: D3D9406B 18000139
	s_nop 3                                                    // 00000000529C: BF800003
	v_mfma_f32_16x16x32_fp8_fp8 v[176:179], a[106:107], v[202:203], v[176:179]// 0000000052A0: D3F300B0 0EC3956A
	v_accvgpr_read_b32 v52, a118                               // 0000000052A8: D3D84034 18000176
	v_cvt_off_f32_i4_e32 v53, v52                              // 0000000052B0: 7E6A1D34
	v_cvt_off_f32_i4_sdwa v54, v52 dst_sel:DWORD dst_unused:UNUSED_PRESERVE src0_sel:BYTE_2// 0000000052B4: 7E6C1CF9 00021634
	v_cvt_pk_fp8_f32 v56, v53, v54                             // 0000000052BC: D2A20038 00026D35
	v_cvt_off_f32_i4_sdwa v53, v52 dst_sel:DWORD dst_unused:UNUSED_PRESERVE src0_sel:BYTE_1// 0000000052C4: 7E6A1CF9 00011634
	v_cvt_off_f32_i4_sdwa v54, v52 dst_sel:DWORD dst_unused:UNUSED_PRESERVE src0_sel:BYTE_3// 0000000052CC: 7E6C1CF9 00031634
	v_cvt_pk_fp8_f32 v57, v53, v54                             // 0000000052D4: D2A20039 00026D35
	v_lshrrev_b32_e32 v55, 4, v52                              // 0000000052DC: 206E6884
	v_cvt_off_f32_i4_e32 v53, v55                              // 0000000052E0: 7E6A1D37
	v_cvt_off_f32_i4_sdwa v54, v55 dst_sel:DWORD dst_unused:UNUSED_PRESERVE src0_sel:BYTE_2// 0000000052E4: 7E6C1CF9 00021637
	v_cvt_pk_fp8_f32 v56, v53, v54 op_sel:[0,0,1]              // 0000000052EC: D2A24038 00026D35
	v_cvt_off_f32_i4_sdwa v53, v55 dst_sel:DWORD dst_unused:UNUSED_PRESERVE src0_sel:BYTE_1// 0000000052F4: 7E6A1CF9 00011637
	v_cvt_off_f32_i4_sdwa v54, v55 dst_sel:DWORD dst_unused:UNUSED_PRESERVE src0_sel:BYTE_3// 0000000052FC: 7E6C1CF9 00031637
	v_cvt_pk_fp8_f32 v57, v53, v54 op_sel:[0,0,1]              // 000000005304: D2A24039 00026D35
	v_accvgpr_write_b32 a108, v56                              // 00000000530C: D3D9406C 18000138
	v_accvgpr_write_b32 a109, v57                              // 000000005314: D3D9406D 18000139
	s_nop 3                                                    // 00000000531C: BF800003
	v_mfma_f32_16x16x32_fp8_fp8 v[176:179], a[108:109], v[204:205], v[176:179]// 000000005320: D3F300B0 0EC3996C
	v_accvgpr_read_b32 v52, a119                               // 000000005328: D3D84034 18000177
	v_cvt_off_f32_i4_e32 v53, v52                              // 000000005330: 7E6A1D34
	v_cvt_off_f32_i4_sdwa v54, v52 dst_sel:DWORD dst_unused:UNUSED_PRESERVE src0_sel:BYTE_2// 000000005334: 7E6C1CF9 00021634
	v_cvt_pk_fp8_f32 v56, v53, v54                             // 00000000533C: D2A20038 00026D35
	v_cvt_off_f32_i4_sdwa v53, v52 dst_sel:DWORD dst_unused:UNUSED_PRESERVE src0_sel:BYTE_1// 000000005344: 7E6A1CF9 00011634
	v_cvt_off_f32_i4_sdwa v54, v52 dst_sel:DWORD dst_unused:UNUSED_PRESERVE src0_sel:BYTE_3// 00000000534C: 7E6C1CF9 00031634
	v_cvt_pk_fp8_f32 v57, v53, v54                             // 000000005354: D2A20039 00026D35
	v_lshrrev_b32_e32 v55, 4, v52                              // 00000000535C: 206E6884
	v_cvt_off_f32_i4_e32 v53, v55                              // 000000005360: 7E6A1D37
	v_cvt_off_f32_i4_sdwa v54, v55 dst_sel:DWORD dst_unused:UNUSED_PRESERVE src0_sel:BYTE_2// 000000005364: 7E6C1CF9 00021637
	v_cvt_pk_fp8_f32 v56, v53, v54 op_sel:[0,0,1]              // 00000000536C: D2A24038 00026D35
	v_cvt_off_f32_i4_sdwa v53, v55 dst_sel:DWORD dst_unused:UNUSED_PRESERVE src0_sel:BYTE_1// 000000005374: 7E6A1CF9 00011637
	v_cvt_off_f32_i4_sdwa v54, v55 dst_sel:DWORD dst_unused:UNUSED_PRESERVE src0_sel:BYTE_3// 00000000537C: 7E6C1CF9 00031637
	v_cvt_pk_fp8_f32 v57, v53, v54 op_sel:[0,0,1]              // 000000005384: D2A24039 00026D35
	v_accvgpr_write_b32 a110, v56                              // 00000000538C: D3D9406E 18000138
	v_accvgpr_write_b32 a111, v57                              // 000000005394: D3D9406F 18000139
	s_nop 3                                                    // 00000000539C: BF800003
	v_mfma_f32_16x16x32_fp8_fp8 v[176:179], a[110:111], v[206:207], v[176:179]// 0000000053A0: D3F300B0 0EC39D6E
	v_mfma_f32_16x16x32_fp8_fp8 v[180:183], a[96:97], v[208:209], v[180:183]// 0000000053A8: D3F300B4 0ED3A160
	v_mfma_f32_16x16x32_fp8_fp8 v[180:183], a[98:99], v[210:211], v[180:183]// 0000000053B0: D3F300B4 0ED3A562
	buffer_load_dwordx4 a[244:247], v40, s[92:95], 0 offen offset:1024// 0000000053B8: E05C1400 8097F428
	v_mfma_f32_16x16x32_fp8_fp8 v[180:183], a[100:101], v[212:213], v[180:183]// 0000000053C0: D3F300B4 0ED3A964
	v_mfma_f32_16x16x32_fp8_fp8 v[180:183], a[102:103], v[214:215], v[180:183]// 0000000053C8: D3F300B4 0ED3AD66
	v_mfma_f32_16x16x32_fp8_fp8 v[180:183], a[104:105], v[216:217], v[180:183]// 0000000053D0: D3F300B4 0ED3B168
	v_mfma_f32_16x16x32_fp8_fp8 v[180:183], a[106:107], v[218:219], v[180:183]// 0000000053D8: D3F300B4 0ED3B56A
	v_mfma_f32_16x16x32_fp8_fp8 v[180:183], a[108:109], v[220:221], v[180:183]// 0000000053E0: D3F300B4 0ED3B96C
	v_mfma_f32_16x16x32_fp8_fp8 v[180:183], a[110:111], v[222:223], v[180:183]// 0000000053E8: D3F300B4 0ED3BD6E
	s_waitcnt vmcnt(22)                                        // 0000000053F0: BF8C4F76
	v_accvgpr_read_b32 v52, a120                               // 0000000053F4: D3D84034 18000178
	v_cvt_off_f32_i4_e32 v53, v52                              // 0000000053FC: 7E6A1D34
	v_cvt_off_f32_i4_sdwa v54, v52 dst_sel:DWORD dst_unused:UNUSED_PRESERVE src0_sel:BYTE_2// 000000005400: 7E6C1CF9 00021634
	v_cvt_pk_fp8_f32 v56, v53, v54                             // 000000005408: D2A20038 00026D35
	v_cvt_off_f32_i4_sdwa v53, v52 dst_sel:DWORD dst_unused:UNUSED_PRESERVE src0_sel:BYTE_1// 000000005410: 7E6A1CF9 00011634
	v_cvt_off_f32_i4_sdwa v54, v52 dst_sel:DWORD dst_unused:UNUSED_PRESERVE src0_sel:BYTE_3// 000000005418: 7E6C1CF9 00031634
	v_cvt_pk_fp8_f32 v57, v53, v54                             // 000000005420: D2A20039 00026D35
	v_lshrrev_b32_e32 v55, 4, v52                              // 000000005428: 206E6884
	v_cvt_off_f32_i4_e32 v53, v55                              // 00000000542C: 7E6A1D37
	v_cvt_off_f32_i4_sdwa v54, v55 dst_sel:DWORD dst_unused:UNUSED_PRESERVE src0_sel:BYTE_2// 000000005430: 7E6C1CF9 00021637
	v_cvt_pk_fp8_f32 v56, v53, v54 op_sel:[0,0,1]              // 000000005438: D2A24038 00026D35
	v_cvt_off_f32_i4_sdwa v53, v55 dst_sel:DWORD dst_unused:UNUSED_PRESERVE src0_sel:BYTE_1// 000000005440: 7E6A1CF9 00011637
	v_cvt_off_f32_i4_sdwa v54, v55 dst_sel:DWORD dst_unused:UNUSED_PRESERVE src0_sel:BYTE_3// 000000005448: 7E6C1CF9 00031637
	v_cvt_pk_fp8_f32 v57, v53, v54 op_sel:[0,0,1]              // 000000005450: D2A24039 00026D35
	v_accvgpr_write_b32 a112, v56                              // 000000005458: D3D94070 18000138
	v_accvgpr_write_b32 a113, v57                              // 000000005460: D3D94071 18000139
	s_nop 3                                                    // 000000005468: BF800003
	v_mfma_f32_16x16x32_fp8_fp8 v[184:187], a[112:113], v[192:193], v[184:187]// 00000000546C: D3F300B8 0EE38170
	v_accvgpr_read_b32 v52, a121                               // 000000005474: D3D84034 18000179
	v_cvt_off_f32_i4_e32 v53, v52                              // 00000000547C: 7E6A1D34
	v_cvt_off_f32_i4_sdwa v54, v52 dst_sel:DWORD dst_unused:UNUSED_PRESERVE src0_sel:BYTE_2// 000000005480: 7E6C1CF9 00021634
	v_cvt_pk_fp8_f32 v56, v53, v54                             // 000000005488: D2A20038 00026D35
	v_cvt_off_f32_i4_sdwa v53, v52 dst_sel:DWORD dst_unused:UNUSED_PRESERVE src0_sel:BYTE_1// 000000005490: 7E6A1CF9 00011634
	v_cvt_off_f32_i4_sdwa v54, v52 dst_sel:DWORD dst_unused:UNUSED_PRESERVE src0_sel:BYTE_3// 000000005498: 7E6C1CF9 00031634
	v_cvt_pk_fp8_f32 v57, v53, v54                             // 0000000054A0: D2A20039 00026D35
	v_lshrrev_b32_e32 v55, 4, v52                              // 0000000054A8: 206E6884
	v_cvt_off_f32_i4_e32 v53, v55                              // 0000000054AC: 7E6A1D37
	v_cvt_off_f32_i4_sdwa v54, v55 dst_sel:DWORD dst_unused:UNUSED_PRESERVE src0_sel:BYTE_2// 0000000054B0: 7E6C1CF9 00021637
	v_cvt_pk_fp8_f32 v56, v53, v54 op_sel:[0,0,1]              // 0000000054B8: D2A24038 00026D35
	v_cvt_off_f32_i4_sdwa v53, v55 dst_sel:DWORD dst_unused:UNUSED_PRESERVE src0_sel:BYTE_1// 0000000054C0: 7E6A1CF9 00011637
	v_cvt_off_f32_i4_sdwa v54, v55 dst_sel:DWORD dst_unused:UNUSED_PRESERVE src0_sel:BYTE_3// 0000000054C8: 7E6C1CF9 00031637
	v_cvt_pk_fp8_f32 v57, v53, v54 op_sel:[0,0,1]              // 0000000054D0: D2A24039 00026D35
	v_accvgpr_write_b32 a114, v56                              // 0000000054D8: D3D94072 18000138
	v_accvgpr_write_b32 a115, v57                              // 0000000054E0: D3D94073 18000139
	s_nop 3                                                    // 0000000054E8: BF800003
	v_mfma_f32_16x16x32_fp8_fp8 v[184:187], a[114:115], v[194:195], v[184:187]// 0000000054EC: D3F300B8 0EE38572
	buffer_load_dwordx4 a[248:251], v41, s[92:95], 0 offen     // 0000000054F4: E05C1000 8097F829
	v_accvgpr_read_b32 v52, a122                               // 0000000054FC: D3D84034 1800017A
	v_cvt_off_f32_i4_e32 v53, v52                              // 000000005504: 7E6A1D34
	v_cvt_off_f32_i4_sdwa v54, v52 dst_sel:DWORD dst_unused:UNUSED_PRESERVE src0_sel:BYTE_2// 000000005508: 7E6C1CF9 00021634
	v_cvt_pk_fp8_f32 v56, v53, v54                             // 000000005510: D2A20038 00026D35
	v_cvt_off_f32_i4_sdwa v53, v52 dst_sel:DWORD dst_unused:UNUSED_PRESERVE src0_sel:BYTE_1// 000000005518: 7E6A1CF9 00011634
	v_cvt_off_f32_i4_sdwa v54, v52 dst_sel:DWORD dst_unused:UNUSED_PRESERVE src0_sel:BYTE_3// 000000005520: 7E6C1CF9 00031634
	v_cvt_pk_fp8_f32 v57, v53, v54                             // 000000005528: D2A20039 00026D35
	v_lshrrev_b32_e32 v55, 4, v52                              // 000000005530: 206E6884
	v_cvt_off_f32_i4_e32 v53, v55                              // 000000005534: 7E6A1D37
	v_cvt_off_f32_i4_sdwa v54, v55 dst_sel:DWORD dst_unused:UNUSED_PRESERVE src0_sel:BYTE_2// 000000005538: 7E6C1CF9 00021637
	v_cvt_pk_fp8_f32 v56, v53, v54 op_sel:[0,0,1]              // 000000005540: D2A24038 00026D35
	v_cvt_off_f32_i4_sdwa v53, v55 dst_sel:DWORD dst_unused:UNUSED_PRESERVE src0_sel:BYTE_1// 000000005548: 7E6A1CF9 00011637
	v_cvt_off_f32_i4_sdwa v54, v55 dst_sel:DWORD dst_unused:UNUSED_PRESERVE src0_sel:BYTE_3// 000000005550: 7E6C1CF9 00031637
	v_cvt_pk_fp8_f32 v57, v53, v54 op_sel:[0,0,1]              // 000000005558: D2A24039 00026D35
	v_accvgpr_write_b32 a116, v56                              // 000000005560: D3D94074 18000138
	v_accvgpr_write_b32 a117, v57                              // 000000005568: D3D94075 18000139
	s_nop 3                                                    // 000000005570: BF800003
	v_mfma_f32_16x16x32_fp8_fp8 v[184:187], a[116:117], v[196:197], v[184:187]// 000000005574: D3F300B8 0EE38974
	v_accvgpr_read_b32 v52, a123                               // 00000000557C: D3D84034 1800017B
	v_cvt_off_f32_i4_e32 v53, v52                              // 000000005584: 7E6A1D34
	v_cvt_off_f32_i4_sdwa v54, v52 dst_sel:DWORD dst_unused:UNUSED_PRESERVE src0_sel:BYTE_2// 000000005588: 7E6C1CF9 00021634
	v_cvt_pk_fp8_f32 v56, v53, v54                             // 000000005590: D2A20038 00026D35
	v_cvt_off_f32_i4_sdwa v53, v52 dst_sel:DWORD dst_unused:UNUSED_PRESERVE src0_sel:BYTE_1// 000000005598: 7E6A1CF9 00011634
	v_cvt_off_f32_i4_sdwa v54, v52 dst_sel:DWORD dst_unused:UNUSED_PRESERVE src0_sel:BYTE_3// 0000000055A0: 7E6C1CF9 00031634
	v_cvt_pk_fp8_f32 v57, v53, v54                             // 0000000055A8: D2A20039 00026D35
	v_lshrrev_b32_e32 v55, 4, v52                              // 0000000055B0: 206E6884
	v_cvt_off_f32_i4_e32 v53, v55                              // 0000000055B4: 7E6A1D37
	v_cvt_off_f32_i4_sdwa v54, v55 dst_sel:DWORD dst_unused:UNUSED_PRESERVE src0_sel:BYTE_2// 0000000055B8: 7E6C1CF9 00021637
	v_cvt_pk_fp8_f32 v56, v53, v54 op_sel:[0,0,1]              // 0000000055C0: D2A24038 00026D35
	v_cvt_off_f32_i4_sdwa v53, v55 dst_sel:DWORD dst_unused:UNUSED_PRESERVE src0_sel:BYTE_1// 0000000055C8: 7E6A1CF9 00011637
	v_cvt_off_f32_i4_sdwa v54, v55 dst_sel:DWORD dst_unused:UNUSED_PRESERVE src0_sel:BYTE_3// 0000000055D0: 7E6C1CF9 00031637
	v_cvt_pk_fp8_f32 v57, v53, v54 op_sel:[0,0,1]              // 0000000055D8: D2A24039 00026D35
	v_accvgpr_write_b32 a118, v56                              // 0000000055E0: D3D94076 18000138
	v_accvgpr_write_b32 a119, v57                              // 0000000055E8: D3D94077 18000139
	s_nop 3                                                    // 0000000055F0: BF800003
	v_mfma_f32_16x16x32_fp8_fp8 v[184:187], a[118:119], v[198:199], v[184:187]// 0000000055F4: D3F300B8 0EE38D76
	v_accvgpr_read_b32 v52, a124                               // 0000000055FC: D3D84034 1800017C
	v_cvt_off_f32_i4_e32 v53, v52                              // 000000005604: 7E6A1D34
	v_cvt_off_f32_i4_sdwa v54, v52 dst_sel:DWORD dst_unused:UNUSED_PRESERVE src0_sel:BYTE_2// 000000005608: 7E6C1CF9 00021634
	v_cvt_pk_fp8_f32 v56, v53, v54                             // 000000005610: D2A20038 00026D35
	v_cvt_off_f32_i4_sdwa v53, v52 dst_sel:DWORD dst_unused:UNUSED_PRESERVE src0_sel:BYTE_1// 000000005618: 7E6A1CF9 00011634
	v_cvt_off_f32_i4_sdwa v54, v52 dst_sel:DWORD dst_unused:UNUSED_PRESERVE src0_sel:BYTE_3// 000000005620: 7E6C1CF9 00031634
	v_cvt_pk_fp8_f32 v57, v53, v54                             // 000000005628: D2A20039 00026D35
	v_lshrrev_b32_e32 v55, 4, v52                              // 000000005630: 206E6884
	v_cvt_off_f32_i4_e32 v53, v55                              // 000000005634: 7E6A1D37
	v_cvt_off_f32_i4_sdwa v54, v55 dst_sel:DWORD dst_unused:UNUSED_PRESERVE src0_sel:BYTE_2// 000000005638: 7E6C1CF9 00021637
	v_cvt_pk_fp8_f32 v56, v53, v54 op_sel:[0,0,1]              // 000000005640: D2A24038 00026D35
	v_cvt_off_f32_i4_sdwa v53, v55 dst_sel:DWORD dst_unused:UNUSED_PRESERVE src0_sel:BYTE_1// 000000005648: 7E6A1CF9 00011637
	v_cvt_off_f32_i4_sdwa v54, v55 dst_sel:DWORD dst_unused:UNUSED_PRESERVE src0_sel:BYTE_3// 000000005650: 7E6C1CF9 00031637
	v_cvt_pk_fp8_f32 v57, v53, v54 op_sel:[0,0,1]              // 000000005658: D2A24039 00026D35
	v_accvgpr_write_b32 a120, v56                              // 000000005660: D3D94078 18000138
	v_accvgpr_write_b32 a121, v57                              // 000000005668: D3D94079 18000139
	s_nop 3                                                    // 000000005670: BF800003
	v_mfma_f32_16x16x32_fp8_fp8 v[184:187], a[120:121], v[200:201], v[184:187]// 000000005674: D3F300B8 0EE39178
	v_accvgpr_read_b32 v52, a125                               // 00000000567C: D3D84034 1800017D
	v_cvt_off_f32_i4_e32 v53, v52                              // 000000005684: 7E6A1D34
	v_cvt_off_f32_i4_sdwa v54, v52 dst_sel:DWORD dst_unused:UNUSED_PRESERVE src0_sel:BYTE_2// 000000005688: 7E6C1CF9 00021634
	v_cvt_pk_fp8_f32 v56, v53, v54                             // 000000005690: D2A20038 00026D35
	v_cvt_off_f32_i4_sdwa v53, v52 dst_sel:DWORD dst_unused:UNUSED_PRESERVE src0_sel:BYTE_1// 000000005698: 7E6A1CF9 00011634
	v_cvt_off_f32_i4_sdwa v54, v52 dst_sel:DWORD dst_unused:UNUSED_PRESERVE src0_sel:BYTE_3// 0000000056A0: 7E6C1CF9 00031634
	v_cvt_pk_fp8_f32 v57, v53, v54                             // 0000000056A8: D2A20039 00026D35
	v_lshrrev_b32_e32 v55, 4, v52                              // 0000000056B0: 206E6884
	v_cvt_off_f32_i4_e32 v53, v55                              // 0000000056B4: 7E6A1D37
	v_cvt_off_f32_i4_sdwa v54, v55 dst_sel:DWORD dst_unused:UNUSED_PRESERVE src0_sel:BYTE_2// 0000000056B8: 7E6C1CF9 00021637
	v_cvt_pk_fp8_f32 v56, v53, v54 op_sel:[0,0,1]              // 0000000056C0: D2A24038 00026D35
	v_cvt_off_f32_i4_sdwa v53, v55 dst_sel:DWORD dst_unused:UNUSED_PRESERVE src0_sel:BYTE_1// 0000000056C8: 7E6A1CF9 00011637
	v_cvt_off_f32_i4_sdwa v54, v55 dst_sel:DWORD dst_unused:UNUSED_PRESERVE src0_sel:BYTE_3// 0000000056D0: 7E6C1CF9 00031637
	v_cvt_pk_fp8_f32 v57, v53, v54 op_sel:[0,0,1]              // 0000000056D8: D2A24039 00026D35
	v_accvgpr_write_b32 a122, v56                              // 0000000056E0: D3D9407A 18000138
	v_accvgpr_write_b32 a123, v57                              // 0000000056E8: D3D9407B 18000139
	s_nop 3                                                    // 0000000056F0: BF800003
	v_mfma_f32_16x16x32_fp8_fp8 v[184:187], a[122:123], v[202:203], v[184:187]// 0000000056F4: D3F300B8 0EE3957A
	v_accvgpr_read_b32 v52, a126                               // 0000000056FC: D3D84034 1800017E
	v_cvt_off_f32_i4_e32 v53, v52                              // 000000005704: 7E6A1D34
	v_cvt_off_f32_i4_sdwa v54, v52 dst_sel:DWORD dst_unused:UNUSED_PRESERVE src0_sel:BYTE_2// 000000005708: 7E6C1CF9 00021634
	v_cvt_pk_fp8_f32 v56, v53, v54                             // 000000005710: D2A20038 00026D35
	v_cvt_off_f32_i4_sdwa v53, v52 dst_sel:DWORD dst_unused:UNUSED_PRESERVE src0_sel:BYTE_1// 000000005718: 7E6A1CF9 00011634
	v_cvt_off_f32_i4_sdwa v54, v52 dst_sel:DWORD dst_unused:UNUSED_PRESERVE src0_sel:BYTE_3// 000000005720: 7E6C1CF9 00031634
	v_cvt_pk_fp8_f32 v57, v53, v54                             // 000000005728: D2A20039 00026D35
	v_lshrrev_b32_e32 v55, 4, v52                              // 000000005730: 206E6884
	v_cvt_off_f32_i4_e32 v53, v55                              // 000000005734: 7E6A1D37
	v_cvt_off_f32_i4_sdwa v54, v55 dst_sel:DWORD dst_unused:UNUSED_PRESERVE src0_sel:BYTE_2// 000000005738: 7E6C1CF9 00021637
	v_cvt_pk_fp8_f32 v56, v53, v54 op_sel:[0,0,1]              // 000000005740: D2A24038 00026D35
	v_cvt_off_f32_i4_sdwa v53, v55 dst_sel:DWORD dst_unused:UNUSED_PRESERVE src0_sel:BYTE_1// 000000005748: 7E6A1CF9 00011637
	v_cvt_off_f32_i4_sdwa v54, v55 dst_sel:DWORD dst_unused:UNUSED_PRESERVE src0_sel:BYTE_3// 000000005750: 7E6C1CF9 00031637
	v_cvt_pk_fp8_f32 v57, v53, v54 op_sel:[0,0,1]              // 000000005758: D2A24039 00026D35
	v_accvgpr_write_b32 a124, v56                              // 000000005760: D3D9407C 18000138
	v_accvgpr_write_b32 a125, v57                              // 000000005768: D3D9407D 18000139
	s_nop 3                                                    // 000000005770: BF800003
	v_mfma_f32_16x16x32_fp8_fp8 v[184:187], a[124:125], v[204:205], v[184:187]// 000000005774: D3F300B8 0EE3997C
	v_accvgpr_read_b32 v52, a127                               // 00000000577C: D3D84034 1800017F
	v_cvt_off_f32_i4_e32 v53, v52                              // 000000005784: 7E6A1D34
	v_cvt_off_f32_i4_sdwa v54, v52 dst_sel:DWORD dst_unused:UNUSED_PRESERVE src0_sel:BYTE_2// 000000005788: 7E6C1CF9 00021634
	v_cvt_pk_fp8_f32 v56, v53, v54                             // 000000005790: D2A20038 00026D35
	v_cvt_off_f32_i4_sdwa v53, v52 dst_sel:DWORD dst_unused:UNUSED_PRESERVE src0_sel:BYTE_1// 000000005798: 7E6A1CF9 00011634
	v_cvt_off_f32_i4_sdwa v54, v52 dst_sel:DWORD dst_unused:UNUSED_PRESERVE src0_sel:BYTE_3// 0000000057A0: 7E6C1CF9 00031634
	v_cvt_pk_fp8_f32 v57, v53, v54                             // 0000000057A8: D2A20039 00026D35
	v_lshrrev_b32_e32 v55, 4, v52                              // 0000000057B0: 206E6884
	v_cvt_off_f32_i4_e32 v53, v55                              // 0000000057B4: 7E6A1D37
	v_cvt_off_f32_i4_sdwa v54, v55 dst_sel:DWORD dst_unused:UNUSED_PRESERVE src0_sel:BYTE_2// 0000000057B8: 7E6C1CF9 00021637
	v_cvt_pk_fp8_f32 v56, v53, v54 op_sel:[0,0,1]              // 0000000057C0: D2A24038 00026D35
	v_cvt_off_f32_i4_sdwa v53, v55 dst_sel:DWORD dst_unused:UNUSED_PRESERVE src0_sel:BYTE_1// 0000000057C8: 7E6A1CF9 00011637
	v_cvt_off_f32_i4_sdwa v54, v55 dst_sel:DWORD dst_unused:UNUSED_PRESERVE src0_sel:BYTE_3// 0000000057D0: 7E6C1CF9 00031637
	v_cvt_pk_fp8_f32 v57, v53, v54 op_sel:[0,0,1]              // 0000000057D8: D2A24039 00026D35
	v_accvgpr_write_b32 a126, v56                              // 0000000057E0: D3D9407E 18000138
	v_accvgpr_write_b32 a127, v57                              // 0000000057E8: D3D9407F 18000139
	s_nop 3                                                    // 0000000057F0: BF800003
	v_mfma_f32_16x16x32_fp8_fp8 v[184:187], a[126:127], v[206:207], v[184:187]// 0000000057F4: D3F300B8 0EE39D7E
	v_mfma_f32_16x16x32_fp8_fp8 v[188:191], a[112:113], v[208:209], v[188:191]// 0000000057FC: D3F300BC 0EF3A170
	v_mfma_f32_16x16x32_fp8_fp8 v[188:191], a[114:115], v[210:211], v[188:191]// 000000005804: D3F300BC 0EF3A572
	buffer_load_dwordx4 a[252:255], v41, s[92:95], 0 offen offset:1024// 00000000580C: E05C1400 8097FC29
	v_mfma_f32_16x16x32_fp8_fp8 v[188:191], a[116:117], v[212:213], v[188:191]// 000000005814: D3F300BC 0EF3A974
	v_mfma_f32_16x16x32_fp8_fp8 v[188:191], a[118:119], v[214:215], v[188:191]// 00000000581C: D3F300BC 0EF3AD76
	v_mfma_f32_16x16x32_fp8_fp8 v[188:191], a[120:121], v[216:217], v[188:191]// 000000005824: D3F300BC 0EF3B178
	v_mfma_f32_16x16x32_fp8_fp8 v[188:191], a[122:123], v[218:219], v[188:191]// 00000000582C: D3F300BC 0EF3B57A
	v_mfma_f32_16x16x32_fp8_fp8 v[188:191], a[124:125], v[220:221], v[188:191]// 000000005834: D3F300BC 0EF3B97C
	v_mfma_f32_16x16x32_fp8_fp8 v[188:191], a[126:127], v[222:223], v[188:191]// 00000000583C: D3F300BC 0EF3BD7E
	s_waitcnt vmcnt(12)                                        // 000000005844: BF8C0F7C
	s_barrier                                                  // 000000005848: BF8A0000
	v_accvgpr_read_b32 v52, a192                               // 00000000584C: D3D84034 180001C0
	v_cvt_off_f32_i4_e32 v53, v52                              // 000000005854: 7E6A1D34
	v_cvt_off_f32_i4_sdwa v54, v52 dst_sel:DWORD dst_unused:UNUSED_PRESERVE src0_sel:BYTE_2// 000000005858: 7E6C1CF9 00021634
	v_cvt_pk_fp8_f32 v56, v53, v54                             // 000000005860: D2A20038 00026D35
	v_cvt_off_f32_i4_sdwa v53, v52 dst_sel:DWORD dst_unused:UNUSED_PRESERVE src0_sel:BYTE_1// 000000005868: 7E6A1CF9 00011634
	v_cvt_off_f32_i4_sdwa v54, v52 dst_sel:DWORD dst_unused:UNUSED_PRESERVE src0_sel:BYTE_3// 000000005870: 7E6C1CF9 00031634
	v_cvt_pk_fp8_f32 v57, v53, v54                             // 000000005878: D2A20039 00026D35
	v_lshrrev_b32_e32 v55, 4, v52                              // 000000005880: 206E6884
	v_cvt_off_f32_i4_e32 v53, v55                              // 000000005884: 7E6A1D37
	v_cvt_off_f32_i4_sdwa v54, v55 dst_sel:DWORD dst_unused:UNUSED_PRESERVE src0_sel:BYTE_2// 000000005888: 7E6C1CF9 00021637
	v_cvt_pk_fp8_f32 v56, v53, v54 op_sel:[0,0,1]              // 000000005890: D2A24038 00026D35
	v_cvt_off_f32_i4_sdwa v53, v55 dst_sel:DWORD dst_unused:UNUSED_PRESERVE src0_sel:BYTE_1// 000000005898: 7E6A1CF9 00011637
	v_cvt_off_f32_i4_sdwa v54, v55 dst_sel:DWORD dst_unused:UNUSED_PRESERVE src0_sel:BYTE_3// 0000000058A0: 7E6C1CF9 00031637
	v_cvt_pk_fp8_f32 v57, v53, v54 op_sel:[0,0,1]              // 0000000058A8: D2A24039 00026D35
	v_accvgpr_write_b32 a128, v56                              // 0000000058B0: D3D94080 18000138
	v_accvgpr_write_b32 a129, v57                              // 0000000058B8: D3D94081 18000139
	s_nop 3                                                    // 0000000058C0: BF800003
	v_mfma_f32_16x16x32_fp8_fp8 v[64:67], a[128:129], v[192:193], v[64:67]// 0000000058C4: D3F30040 0D038180
	v_accvgpr_read_b32 v52, a193                               // 0000000058CC: D3D84034 180001C1
	v_cvt_off_f32_i4_e32 v53, v52                              // 0000000058D4: 7E6A1D34
	v_cvt_off_f32_i4_sdwa v54, v52 dst_sel:DWORD dst_unused:UNUSED_PRESERVE src0_sel:BYTE_2// 0000000058D8: 7E6C1CF9 00021634
	v_cvt_pk_fp8_f32 v56, v53, v54                             // 0000000058E0: D2A20038 00026D35
	v_cvt_off_f32_i4_sdwa v53, v52 dst_sel:DWORD dst_unused:UNUSED_PRESERVE src0_sel:BYTE_1// 0000000058E8: 7E6A1CF9 00011634
	v_cvt_off_f32_i4_sdwa v54, v52 dst_sel:DWORD dst_unused:UNUSED_PRESERVE src0_sel:BYTE_3// 0000000058F0: 7E6C1CF9 00031634
	v_cvt_pk_fp8_f32 v57, v53, v54                             // 0000000058F8: D2A20039 00026D35
	v_lshrrev_b32_e32 v55, 4, v52                              // 000000005900: 206E6884
	v_cvt_off_f32_i4_e32 v53, v55                              // 000000005904: 7E6A1D37
	v_cvt_off_f32_i4_sdwa v54, v55 dst_sel:DWORD dst_unused:UNUSED_PRESERVE src0_sel:BYTE_2// 000000005908: 7E6C1CF9 00021637
	v_cvt_pk_fp8_f32 v56, v53, v54 op_sel:[0,0,1]              // 000000005910: D2A24038 00026D35
	v_cvt_off_f32_i4_sdwa v53, v55 dst_sel:DWORD dst_unused:UNUSED_PRESERVE src0_sel:BYTE_1// 000000005918: 7E6A1CF9 00011637
	v_cvt_off_f32_i4_sdwa v54, v55 dst_sel:DWORD dst_unused:UNUSED_PRESERVE src0_sel:BYTE_3// 000000005920: 7E6C1CF9 00031637
	v_cvt_pk_fp8_f32 v57, v53, v54 op_sel:[0,0,1]              // 000000005928: D2A24039 00026D35
	v_accvgpr_write_b32 a130, v56                              // 000000005930: D3D94082 18000138
	v_accvgpr_write_b32 a131, v57                              // 000000005938: D3D94083 18000139
	s_nop 3                                                    // 000000005940: BF800003
	v_mfma_f32_16x16x32_fp8_fp8 v[64:67], a[130:131], v[194:195], v[64:67]// 000000005944: D3F30040 0D038582
	buffer_load_dwordx4 a[64:67], v34, s[24:27], 0 offen       // 00000000594C: E05C1000 80864022
	v_accvgpr_read_b32 v52, a194                               // 000000005954: D3D84034 180001C2
	v_cvt_off_f32_i4_e32 v53, v52                              // 00000000595C: 7E6A1D34
	v_cvt_off_f32_i4_sdwa v54, v52 dst_sel:DWORD dst_unused:UNUSED_PRESERVE src0_sel:BYTE_2// 000000005960: 7E6C1CF9 00021634
	v_cvt_pk_fp8_f32 v56, v53, v54                             // 000000005968: D2A20038 00026D35
	v_cvt_off_f32_i4_sdwa v53, v52 dst_sel:DWORD dst_unused:UNUSED_PRESERVE src0_sel:BYTE_1// 000000005970: 7E6A1CF9 00011634
	v_cvt_off_f32_i4_sdwa v54, v52 dst_sel:DWORD dst_unused:UNUSED_PRESERVE src0_sel:BYTE_3// 000000005978: 7E6C1CF9 00031634
	v_cvt_pk_fp8_f32 v57, v53, v54                             // 000000005980: D2A20039 00026D35
	v_lshrrev_b32_e32 v55, 4, v52                              // 000000005988: 206E6884
	v_cvt_off_f32_i4_e32 v53, v55                              // 00000000598C: 7E6A1D37
	v_cvt_off_f32_i4_sdwa v54, v55 dst_sel:DWORD dst_unused:UNUSED_PRESERVE src0_sel:BYTE_2// 000000005990: 7E6C1CF9 00021637
	v_cvt_pk_fp8_f32 v56, v53, v54 op_sel:[0,0,1]              // 000000005998: D2A24038 00026D35
	v_cvt_off_f32_i4_sdwa v53, v55 dst_sel:DWORD dst_unused:UNUSED_PRESERVE src0_sel:BYTE_1// 0000000059A0: 7E6A1CF9 00011637
	v_cvt_off_f32_i4_sdwa v54, v55 dst_sel:DWORD dst_unused:UNUSED_PRESERVE src0_sel:BYTE_3// 0000000059A8: 7E6C1CF9 00031637
	v_cvt_pk_fp8_f32 v57, v53, v54 op_sel:[0,0,1]              // 0000000059B0: D2A24039 00026D35
	v_accvgpr_write_b32 a132, v56                              // 0000000059B8: D3D94084 18000138
	v_accvgpr_write_b32 a133, v57                              // 0000000059C0: D3D94085 18000139
	s_nop 3                                                    // 0000000059C8: BF800003
	v_mfma_f32_16x16x32_fp8_fp8 v[64:67], a[132:133], v[196:197], v[64:67]// 0000000059CC: D3F30040 0D038984
	v_accvgpr_read_b32 v52, a195                               // 0000000059D4: D3D84034 180001C3
	v_cvt_off_f32_i4_e32 v53, v52                              // 0000000059DC: 7E6A1D34
	v_cvt_off_f32_i4_sdwa v54, v52 dst_sel:DWORD dst_unused:UNUSED_PRESERVE src0_sel:BYTE_2// 0000000059E0: 7E6C1CF9 00021634
	v_cvt_pk_fp8_f32 v56, v53, v54                             // 0000000059E8: D2A20038 00026D35
	v_cvt_off_f32_i4_sdwa v53, v52 dst_sel:DWORD dst_unused:UNUSED_PRESERVE src0_sel:BYTE_1// 0000000059F0: 7E6A1CF9 00011634
	v_cvt_off_f32_i4_sdwa v54, v52 dst_sel:DWORD dst_unused:UNUSED_PRESERVE src0_sel:BYTE_3// 0000000059F8: 7E6C1CF9 00031634
	v_cvt_pk_fp8_f32 v57, v53, v54                             // 000000005A00: D2A20039 00026D35
	v_lshrrev_b32_e32 v55, 4, v52                              // 000000005A08: 206E6884
	v_cvt_off_f32_i4_e32 v53, v55                              // 000000005A0C: 7E6A1D37
	v_cvt_off_f32_i4_sdwa v54, v55 dst_sel:DWORD dst_unused:UNUSED_PRESERVE src0_sel:BYTE_2// 000000005A10: 7E6C1CF9 00021637
	v_cvt_pk_fp8_f32 v56, v53, v54 op_sel:[0,0,1]              // 000000005A18: D2A24038 00026D35
	v_cvt_off_f32_i4_sdwa v53, v55 dst_sel:DWORD dst_unused:UNUSED_PRESERVE src0_sel:BYTE_1// 000000005A20: 7E6A1CF9 00011637
	v_cvt_off_f32_i4_sdwa v54, v55 dst_sel:DWORD dst_unused:UNUSED_PRESERVE src0_sel:BYTE_3// 000000005A28: 7E6C1CF9 00031637
	v_cvt_pk_fp8_f32 v57, v53, v54 op_sel:[0,0,1]              // 000000005A30: D2A24039 00026D35
	v_accvgpr_write_b32 a134, v56                              // 000000005A38: D3D94086 18000138
	v_accvgpr_write_b32 a135, v57                              // 000000005A40: D3D94087 18000139
	s_nop 3                                                    // 000000005A48: BF800003
	v_mfma_f32_16x16x32_fp8_fp8 v[64:67], a[134:135], v[198:199], v[64:67]// 000000005A4C: D3F30040 0D038D86
	v_accvgpr_read_b32 v52, a196                               // 000000005A54: D3D84034 180001C4
	v_cvt_off_f32_i4_e32 v53, v52                              // 000000005A5C: 7E6A1D34
	v_cvt_off_f32_i4_sdwa v54, v52 dst_sel:DWORD dst_unused:UNUSED_PRESERVE src0_sel:BYTE_2// 000000005A60: 7E6C1CF9 00021634
	v_cvt_pk_fp8_f32 v56, v53, v54                             // 000000005A68: D2A20038 00026D35
	v_cvt_off_f32_i4_sdwa v53, v52 dst_sel:DWORD dst_unused:UNUSED_PRESERVE src0_sel:BYTE_1// 000000005A70: 7E6A1CF9 00011634
	v_cvt_off_f32_i4_sdwa v54, v52 dst_sel:DWORD dst_unused:UNUSED_PRESERVE src0_sel:BYTE_3// 000000005A78: 7E6C1CF9 00031634
	v_cvt_pk_fp8_f32 v57, v53, v54                             // 000000005A80: D2A20039 00026D35
	v_lshrrev_b32_e32 v55, 4, v52                              // 000000005A88: 206E6884
	v_cvt_off_f32_i4_e32 v53, v55                              // 000000005A8C: 7E6A1D37
	v_cvt_off_f32_i4_sdwa v54, v55 dst_sel:DWORD dst_unused:UNUSED_PRESERVE src0_sel:BYTE_2// 000000005A90: 7E6C1CF9 00021637
	v_cvt_pk_fp8_f32 v56, v53, v54 op_sel:[0,0,1]              // 000000005A98: D2A24038 00026D35
	v_cvt_off_f32_i4_sdwa v53, v55 dst_sel:DWORD dst_unused:UNUSED_PRESERVE src0_sel:BYTE_1// 000000005AA0: 7E6A1CF9 00011637
	v_cvt_off_f32_i4_sdwa v54, v55 dst_sel:DWORD dst_unused:UNUSED_PRESERVE src0_sel:BYTE_3// 000000005AA8: 7E6C1CF9 00031637
	v_cvt_pk_fp8_f32 v57, v53, v54 op_sel:[0,0,1]              // 000000005AB0: D2A24039 00026D35
	v_accvgpr_write_b32 a136, v56                              // 000000005AB8: D3D94088 18000138
	v_accvgpr_write_b32 a137, v57                              // 000000005AC0: D3D94089 18000139
	s_nop 3                                                    // 000000005AC8: BF800003
	v_mfma_f32_16x16x32_fp8_fp8 v[64:67], a[136:137], v[200:201], v[64:67]// 000000005ACC: D3F30040 0D039188
	v_accvgpr_read_b32 v52, a197                               // 000000005AD4: D3D84034 180001C5
	v_cvt_off_f32_i4_e32 v53, v52                              // 000000005ADC: 7E6A1D34
	v_cvt_off_f32_i4_sdwa v54, v52 dst_sel:DWORD dst_unused:UNUSED_PRESERVE src0_sel:BYTE_2// 000000005AE0: 7E6C1CF9 00021634
	v_cvt_pk_fp8_f32 v56, v53, v54                             // 000000005AE8: D2A20038 00026D35
	v_cvt_off_f32_i4_sdwa v53, v52 dst_sel:DWORD dst_unused:UNUSED_PRESERVE src0_sel:BYTE_1// 000000005AF0: 7E6A1CF9 00011634
	v_cvt_off_f32_i4_sdwa v54, v52 dst_sel:DWORD dst_unused:UNUSED_PRESERVE src0_sel:BYTE_3// 000000005AF8: 7E6C1CF9 00031634
	v_cvt_pk_fp8_f32 v57, v53, v54                             // 000000005B00: D2A20039 00026D35
	v_lshrrev_b32_e32 v55, 4, v52                              // 000000005B08: 206E6884
	v_cvt_off_f32_i4_e32 v53, v55                              // 000000005B0C: 7E6A1D37
	v_cvt_off_f32_i4_sdwa v54, v55 dst_sel:DWORD dst_unused:UNUSED_PRESERVE src0_sel:BYTE_2// 000000005B10: 7E6C1CF9 00021637
	v_cvt_pk_fp8_f32 v56, v53, v54 op_sel:[0,0,1]              // 000000005B18: D2A24038 00026D35
	v_cvt_off_f32_i4_sdwa v53, v55 dst_sel:DWORD dst_unused:UNUSED_PRESERVE src0_sel:BYTE_1// 000000005B20: 7E6A1CF9 00011637
	v_cvt_off_f32_i4_sdwa v54, v55 dst_sel:DWORD dst_unused:UNUSED_PRESERVE src0_sel:BYTE_3// 000000005B28: 7E6C1CF9 00031637
	v_cvt_pk_fp8_f32 v57, v53, v54 op_sel:[0,0,1]              // 000000005B30: D2A24039 00026D35
	v_accvgpr_write_b32 a138, v56                              // 000000005B38: D3D9408A 18000138
	v_accvgpr_write_b32 a139, v57                              // 000000005B40: D3D9408B 18000139
	s_nop 3                                                    // 000000005B48: BF800003
	v_mfma_f32_16x16x32_fp8_fp8 v[64:67], a[138:139], v[202:203], v[64:67]// 000000005B4C: D3F30040 0D03958A
	v_accvgpr_read_b32 v52, a198                               // 000000005B54: D3D84034 180001C6
	v_cvt_off_f32_i4_e32 v53, v52                              // 000000005B5C: 7E6A1D34
	v_cvt_off_f32_i4_sdwa v54, v52 dst_sel:DWORD dst_unused:UNUSED_PRESERVE src0_sel:BYTE_2// 000000005B60: 7E6C1CF9 00021634
	v_cvt_pk_fp8_f32 v56, v53, v54                             // 000000005B68: D2A20038 00026D35
	v_cvt_off_f32_i4_sdwa v53, v52 dst_sel:DWORD dst_unused:UNUSED_PRESERVE src0_sel:BYTE_1// 000000005B70: 7E6A1CF9 00011634
	v_cvt_off_f32_i4_sdwa v54, v52 dst_sel:DWORD dst_unused:UNUSED_PRESERVE src0_sel:BYTE_3// 000000005B78: 7E6C1CF9 00031634
	v_cvt_pk_fp8_f32 v57, v53, v54                             // 000000005B80: D2A20039 00026D35
	v_lshrrev_b32_e32 v55, 4, v52                              // 000000005B88: 206E6884
	v_cvt_off_f32_i4_e32 v53, v55                              // 000000005B8C: 7E6A1D37
	v_cvt_off_f32_i4_sdwa v54, v55 dst_sel:DWORD dst_unused:UNUSED_PRESERVE src0_sel:BYTE_2// 000000005B90: 7E6C1CF9 00021637
	v_cvt_pk_fp8_f32 v56, v53, v54 op_sel:[0,0,1]              // 000000005B98: D2A24038 00026D35
	v_cvt_off_f32_i4_sdwa v53, v55 dst_sel:DWORD dst_unused:UNUSED_PRESERVE src0_sel:BYTE_1// 000000005BA0: 7E6A1CF9 00011637
	v_cvt_off_f32_i4_sdwa v54, v55 dst_sel:DWORD dst_unused:UNUSED_PRESERVE src0_sel:BYTE_3// 000000005BA8: 7E6C1CF9 00031637
	v_cvt_pk_fp8_f32 v57, v53, v54 op_sel:[0,0,1]              // 000000005BB0: D2A24039 00026D35
	v_accvgpr_write_b32 a140, v56                              // 000000005BB8: D3D9408C 18000138
	v_accvgpr_write_b32 a141, v57                              // 000000005BC0: D3D9408D 18000139
	s_nop 3                                                    // 000000005BC8: BF800003
	v_mfma_f32_16x16x32_fp8_fp8 v[64:67], a[140:141], v[204:205], v[64:67]// 000000005BCC: D3F30040 0D03998C
	v_accvgpr_read_b32 v52, a199                               // 000000005BD4: D3D84034 180001C7
	v_cvt_off_f32_i4_e32 v53, v52                              // 000000005BDC: 7E6A1D34
	v_cvt_off_f32_i4_sdwa v54, v52 dst_sel:DWORD dst_unused:UNUSED_PRESERVE src0_sel:BYTE_2// 000000005BE0: 7E6C1CF9 00021634
	v_cvt_pk_fp8_f32 v56, v53, v54                             // 000000005BE8: D2A20038 00026D35
	v_cvt_off_f32_i4_sdwa v53, v52 dst_sel:DWORD dst_unused:UNUSED_PRESERVE src0_sel:BYTE_1// 000000005BF0: 7E6A1CF9 00011634
	v_cvt_off_f32_i4_sdwa v54, v52 dst_sel:DWORD dst_unused:UNUSED_PRESERVE src0_sel:BYTE_3// 000000005BF8: 7E6C1CF9 00031634
	v_cvt_pk_fp8_f32 v57, v53, v54                             // 000000005C00: D2A20039 00026D35
	v_lshrrev_b32_e32 v55, 4, v52                              // 000000005C08: 206E6884
	v_cvt_off_f32_i4_e32 v53, v55                              // 000000005C0C: 7E6A1D37
	v_cvt_off_f32_i4_sdwa v54, v55 dst_sel:DWORD dst_unused:UNUSED_PRESERVE src0_sel:BYTE_2// 000000005C10: 7E6C1CF9 00021637
	v_cvt_pk_fp8_f32 v56, v53, v54 op_sel:[0,0,1]              // 000000005C18: D2A24038 00026D35
	v_cvt_off_f32_i4_sdwa v53, v55 dst_sel:DWORD dst_unused:UNUSED_PRESERVE src0_sel:BYTE_1// 000000005C20: 7E6A1CF9 00011637
	v_cvt_off_f32_i4_sdwa v54, v55 dst_sel:DWORD dst_unused:UNUSED_PRESERVE src0_sel:BYTE_3// 000000005C28: 7E6C1CF9 00031637
	v_cvt_pk_fp8_f32 v57, v53, v54 op_sel:[0,0,1]              // 000000005C30: D2A24039 00026D35
	v_accvgpr_write_b32 a142, v56                              // 000000005C38: D3D9408E 18000138
	v_accvgpr_write_b32 a143, v57                              // 000000005C40: D3D9408F 18000139
	s_nop 3                                                    // 000000005C48: BF800003
	v_mfma_f32_16x16x32_fp8_fp8 v[64:67], a[142:143], v[206:207], v[64:67]// 000000005C4C: D3F30040 0D039D8E
	v_mfma_f32_16x16x32_fp8_fp8 v[68:71], a[128:129], v[208:209], v[68:71]// 000000005C54: D3F30044 0D13A180
	v_mfma_f32_16x16x32_fp8_fp8 v[68:71], a[130:131], v[210:211], v[68:71]// 000000005C5C: D3F30044 0D13A582
	buffer_load_dwordx4 a[68:71], v34, s[24:27], 0 offen offset:1024// 000000005C64: E05C1400 80864422
	v_mfma_f32_16x16x32_fp8_fp8 v[68:71], a[132:133], v[212:213], v[68:71]// 000000005C6C: D3F30044 0D13A984
	v_mfma_f32_16x16x32_fp8_fp8 v[68:71], a[134:135], v[214:215], v[68:71]// 000000005C74: D3F30044 0D13AD86
	v_mfma_f32_16x16x32_fp8_fp8 v[68:71], a[136:137], v[216:217], v[68:71]// 000000005C7C: D3F30044 0D13B188
	v_mfma_f32_16x16x32_fp8_fp8 v[68:71], a[138:139], v[218:219], v[68:71]// 000000005C84: D3F30044 0D13B58A
	v_mfma_f32_16x16x32_fp8_fp8 v[68:71], a[140:141], v[220:221], v[68:71]// 000000005C8C: D3F30044 0D13B98C
	v_mfma_f32_16x16x32_fp8_fp8 v[68:71], a[142:143], v[222:223], v[68:71]// 000000005C94: D3F30044 0D13BD8E
	v_accvgpr_read_b32 v52, a200                               // 000000005C9C: D3D84034 180001C8
	v_cvt_off_f32_i4_e32 v53, v52                              // 000000005CA4: 7E6A1D34
	v_cvt_off_f32_i4_sdwa v54, v52 dst_sel:DWORD dst_unused:UNUSED_PRESERVE src0_sel:BYTE_2// 000000005CA8: 7E6C1CF9 00021634
	v_cvt_pk_fp8_f32 v56, v53, v54                             // 000000005CB0: D2A20038 00026D35
	v_cvt_off_f32_i4_sdwa v53, v52 dst_sel:DWORD dst_unused:UNUSED_PRESERVE src0_sel:BYTE_1// 000000005CB8: 7E6A1CF9 00011634
	v_cvt_off_f32_i4_sdwa v54, v52 dst_sel:DWORD dst_unused:UNUSED_PRESERVE src0_sel:BYTE_3// 000000005CC0: 7E6C1CF9 00031634
	v_cvt_pk_fp8_f32 v57, v53, v54                             // 000000005CC8: D2A20039 00026D35
	v_lshrrev_b32_e32 v55, 4, v52                              // 000000005CD0: 206E6884
	v_cvt_off_f32_i4_e32 v53, v55                              // 000000005CD4: 7E6A1D37
	v_cvt_off_f32_i4_sdwa v54, v55 dst_sel:DWORD dst_unused:UNUSED_PRESERVE src0_sel:BYTE_2// 000000005CD8: 7E6C1CF9 00021637
	v_cvt_pk_fp8_f32 v56, v53, v54 op_sel:[0,0,1]              // 000000005CE0: D2A24038 00026D35
	v_cvt_off_f32_i4_sdwa v53, v55 dst_sel:DWORD dst_unused:UNUSED_PRESERVE src0_sel:BYTE_1// 000000005CE8: 7E6A1CF9 00011637
	v_cvt_off_f32_i4_sdwa v54, v55 dst_sel:DWORD dst_unused:UNUSED_PRESERVE src0_sel:BYTE_3// 000000005CF0: 7E6C1CF9 00031637
	v_cvt_pk_fp8_f32 v57, v53, v54 op_sel:[0,0,1]              // 000000005CF8: D2A24039 00026D35
	v_accvgpr_write_b32 a144, v56                              // 000000005D00: D3D94090 18000138
	v_accvgpr_write_b32 a145, v57                              // 000000005D08: D3D94091 18000139
	s_nop 3                                                    // 000000005D10: BF800003
	v_mfma_f32_16x16x32_fp8_fp8 v[72:75], a[144:145], v[192:193], v[72:75]// 000000005D14: D3F30048 0D238190
	v_accvgpr_read_b32 v52, a201                               // 000000005D1C: D3D84034 180001C9
	v_cvt_off_f32_i4_e32 v53, v52                              // 000000005D24: 7E6A1D34
	v_cvt_off_f32_i4_sdwa v54, v52 dst_sel:DWORD dst_unused:UNUSED_PRESERVE src0_sel:BYTE_2// 000000005D28: 7E6C1CF9 00021634
	v_cvt_pk_fp8_f32 v56, v53, v54                             // 000000005D30: D2A20038 00026D35
	v_cvt_off_f32_i4_sdwa v53, v52 dst_sel:DWORD dst_unused:UNUSED_PRESERVE src0_sel:BYTE_1// 000000005D38: 7E6A1CF9 00011634
	v_cvt_off_f32_i4_sdwa v54, v52 dst_sel:DWORD dst_unused:UNUSED_PRESERVE src0_sel:BYTE_3// 000000005D40: 7E6C1CF9 00031634
	v_cvt_pk_fp8_f32 v57, v53, v54                             // 000000005D48: D2A20039 00026D35
	v_lshrrev_b32_e32 v55, 4, v52                              // 000000005D50: 206E6884
	v_cvt_off_f32_i4_e32 v53, v55                              // 000000005D54: 7E6A1D37
	v_cvt_off_f32_i4_sdwa v54, v55 dst_sel:DWORD dst_unused:UNUSED_PRESERVE src0_sel:BYTE_2// 000000005D58: 7E6C1CF9 00021637
	v_cvt_pk_fp8_f32 v56, v53, v54 op_sel:[0,0,1]              // 000000005D60: D2A24038 00026D35
	v_cvt_off_f32_i4_sdwa v53, v55 dst_sel:DWORD dst_unused:UNUSED_PRESERVE src0_sel:BYTE_1// 000000005D68: 7E6A1CF9 00011637
	v_cvt_off_f32_i4_sdwa v54, v55 dst_sel:DWORD dst_unused:UNUSED_PRESERVE src0_sel:BYTE_3// 000000005D70: 7E6C1CF9 00031637
	v_cvt_pk_fp8_f32 v57, v53, v54 op_sel:[0,0,1]              // 000000005D78: D2A24039 00026D35
	v_accvgpr_write_b32 a146, v56                              // 000000005D80: D3D94092 18000138
	v_accvgpr_write_b32 a147, v57                              // 000000005D88: D3D94093 18000139
	s_nop 3                                                    // 000000005D90: BF800003
	v_mfma_f32_16x16x32_fp8_fp8 v[72:75], a[146:147], v[194:195], v[72:75]// 000000005D94: D3F30048 0D238592
	buffer_load_dwordx4 a[72:75], v35, s[24:27], 0 offen       // 000000005D9C: E05C1000 80864823
	v_accvgpr_read_b32 v52, a202                               // 000000005DA4: D3D84034 180001CA
	v_cvt_off_f32_i4_e32 v53, v52                              // 000000005DAC: 7E6A1D34
	v_cvt_off_f32_i4_sdwa v54, v52 dst_sel:DWORD dst_unused:UNUSED_PRESERVE src0_sel:BYTE_2// 000000005DB0: 7E6C1CF9 00021634
	v_cvt_pk_fp8_f32 v56, v53, v54                             // 000000005DB8: D2A20038 00026D35
	v_cvt_off_f32_i4_sdwa v53, v52 dst_sel:DWORD dst_unused:UNUSED_PRESERVE src0_sel:BYTE_1// 000000005DC0: 7E6A1CF9 00011634
	v_cvt_off_f32_i4_sdwa v54, v52 dst_sel:DWORD dst_unused:UNUSED_PRESERVE src0_sel:BYTE_3// 000000005DC8: 7E6C1CF9 00031634
	v_cvt_pk_fp8_f32 v57, v53, v54                             // 000000005DD0: D2A20039 00026D35
	v_lshrrev_b32_e32 v55, 4, v52                              // 000000005DD8: 206E6884
	v_cvt_off_f32_i4_e32 v53, v55                              // 000000005DDC: 7E6A1D37
	v_cvt_off_f32_i4_sdwa v54, v55 dst_sel:DWORD dst_unused:UNUSED_PRESERVE src0_sel:BYTE_2// 000000005DE0: 7E6C1CF9 00021637
	v_cvt_pk_fp8_f32 v56, v53, v54 op_sel:[0,0,1]              // 000000005DE8: D2A24038 00026D35
	v_cvt_off_f32_i4_sdwa v53, v55 dst_sel:DWORD dst_unused:UNUSED_PRESERVE src0_sel:BYTE_1// 000000005DF0: 7E6A1CF9 00011637
	v_cvt_off_f32_i4_sdwa v54, v55 dst_sel:DWORD dst_unused:UNUSED_PRESERVE src0_sel:BYTE_3// 000000005DF8: 7E6C1CF9 00031637
	v_cvt_pk_fp8_f32 v57, v53, v54 op_sel:[0,0,1]              // 000000005E00: D2A24039 00026D35
	v_accvgpr_write_b32 a148, v56                              // 000000005E08: D3D94094 18000138
	v_accvgpr_write_b32 a149, v57                              // 000000005E10: D3D94095 18000139
	s_nop 3                                                    // 000000005E18: BF800003
	v_mfma_f32_16x16x32_fp8_fp8 v[72:75], a[148:149], v[196:197], v[72:75]// 000000005E1C: D3F30048 0D238994
	v_accvgpr_read_b32 v52, a203                               // 000000005E24: D3D84034 180001CB
	v_cvt_off_f32_i4_e32 v53, v52                              // 000000005E2C: 7E6A1D34
	v_cvt_off_f32_i4_sdwa v54, v52 dst_sel:DWORD dst_unused:UNUSED_PRESERVE src0_sel:BYTE_2// 000000005E30: 7E6C1CF9 00021634
	v_cvt_pk_fp8_f32 v56, v53, v54                             // 000000005E38: D2A20038 00026D35
	v_cvt_off_f32_i4_sdwa v53, v52 dst_sel:DWORD dst_unused:UNUSED_PRESERVE src0_sel:BYTE_1// 000000005E40: 7E6A1CF9 00011634
	v_cvt_off_f32_i4_sdwa v54, v52 dst_sel:DWORD dst_unused:UNUSED_PRESERVE src0_sel:BYTE_3// 000000005E48: 7E6C1CF9 00031634
	v_cvt_pk_fp8_f32 v57, v53, v54                             // 000000005E50: D2A20039 00026D35
	v_lshrrev_b32_e32 v55, 4, v52                              // 000000005E58: 206E6884
	v_cvt_off_f32_i4_e32 v53, v55                              // 000000005E5C: 7E6A1D37
	v_cvt_off_f32_i4_sdwa v54, v55 dst_sel:DWORD dst_unused:UNUSED_PRESERVE src0_sel:BYTE_2// 000000005E60: 7E6C1CF9 00021637
	v_cvt_pk_fp8_f32 v56, v53, v54 op_sel:[0,0,1]              // 000000005E68: D2A24038 00026D35
	v_cvt_off_f32_i4_sdwa v53, v55 dst_sel:DWORD dst_unused:UNUSED_PRESERVE src0_sel:BYTE_1// 000000005E70: 7E6A1CF9 00011637
	v_cvt_off_f32_i4_sdwa v54, v55 dst_sel:DWORD dst_unused:UNUSED_PRESERVE src0_sel:BYTE_3// 000000005E78: 7E6C1CF9 00031637
	v_cvt_pk_fp8_f32 v57, v53, v54 op_sel:[0,0,1]              // 000000005E80: D2A24039 00026D35
	v_accvgpr_write_b32 a150, v56                              // 000000005E88: D3D94096 18000138
	v_accvgpr_write_b32 a151, v57                              // 000000005E90: D3D94097 18000139
	s_nop 3                                                    // 000000005E98: BF800003
	v_mfma_f32_16x16x32_fp8_fp8 v[72:75], a[150:151], v[198:199], v[72:75]// 000000005E9C: D3F30048 0D238D96
	v_accvgpr_read_b32 v52, a204                               // 000000005EA4: D3D84034 180001CC
	v_cvt_off_f32_i4_e32 v53, v52                              // 000000005EAC: 7E6A1D34
	v_cvt_off_f32_i4_sdwa v54, v52 dst_sel:DWORD dst_unused:UNUSED_PRESERVE src0_sel:BYTE_2// 000000005EB0: 7E6C1CF9 00021634
	v_cvt_pk_fp8_f32 v56, v53, v54                             // 000000005EB8: D2A20038 00026D35
	v_cvt_off_f32_i4_sdwa v53, v52 dst_sel:DWORD dst_unused:UNUSED_PRESERVE src0_sel:BYTE_1// 000000005EC0: 7E6A1CF9 00011634
	v_cvt_off_f32_i4_sdwa v54, v52 dst_sel:DWORD dst_unused:UNUSED_PRESERVE src0_sel:BYTE_3// 000000005EC8: 7E6C1CF9 00031634
	v_cvt_pk_fp8_f32 v57, v53, v54                             // 000000005ED0: D2A20039 00026D35
	v_lshrrev_b32_e32 v55, 4, v52                              // 000000005ED8: 206E6884
	v_cvt_off_f32_i4_e32 v53, v55                              // 000000005EDC: 7E6A1D37
	v_cvt_off_f32_i4_sdwa v54, v55 dst_sel:DWORD dst_unused:UNUSED_PRESERVE src0_sel:BYTE_2// 000000005EE0: 7E6C1CF9 00021637
	v_cvt_pk_fp8_f32 v56, v53, v54 op_sel:[0,0,1]              // 000000005EE8: D2A24038 00026D35
	v_cvt_off_f32_i4_sdwa v53, v55 dst_sel:DWORD dst_unused:UNUSED_PRESERVE src0_sel:BYTE_1// 000000005EF0: 7E6A1CF9 00011637
	v_cvt_off_f32_i4_sdwa v54, v55 dst_sel:DWORD dst_unused:UNUSED_PRESERVE src0_sel:BYTE_3// 000000005EF8: 7E6C1CF9 00031637
	v_cvt_pk_fp8_f32 v57, v53, v54 op_sel:[0,0,1]              // 000000005F00: D2A24039 00026D35
	v_accvgpr_write_b32 a152, v56                              // 000000005F08: D3D94098 18000138
	v_accvgpr_write_b32 a153, v57                              // 000000005F10: D3D94099 18000139
	s_nop 3                                                    // 000000005F18: BF800003
	v_mfma_f32_16x16x32_fp8_fp8 v[72:75], a[152:153], v[200:201], v[72:75]// 000000005F1C: D3F30048 0D239198
	v_accvgpr_read_b32 v52, a205                               // 000000005F24: D3D84034 180001CD
	v_cvt_off_f32_i4_e32 v53, v52                              // 000000005F2C: 7E6A1D34
	v_cvt_off_f32_i4_sdwa v54, v52 dst_sel:DWORD dst_unused:UNUSED_PRESERVE src0_sel:BYTE_2// 000000005F30: 7E6C1CF9 00021634
	v_cvt_pk_fp8_f32 v56, v53, v54                             // 000000005F38: D2A20038 00026D35
	v_cvt_off_f32_i4_sdwa v53, v52 dst_sel:DWORD dst_unused:UNUSED_PRESERVE src0_sel:BYTE_1// 000000005F40: 7E6A1CF9 00011634
	v_cvt_off_f32_i4_sdwa v54, v52 dst_sel:DWORD dst_unused:UNUSED_PRESERVE src0_sel:BYTE_3// 000000005F48: 7E6C1CF9 00031634
	v_cvt_pk_fp8_f32 v57, v53, v54                             // 000000005F50: D2A20039 00026D35
	v_lshrrev_b32_e32 v55, 4, v52                              // 000000005F58: 206E6884
	v_cvt_off_f32_i4_e32 v53, v55                              // 000000005F5C: 7E6A1D37
	v_cvt_off_f32_i4_sdwa v54, v55 dst_sel:DWORD dst_unused:UNUSED_PRESERVE src0_sel:BYTE_2// 000000005F60: 7E6C1CF9 00021637
	v_cvt_pk_fp8_f32 v56, v53, v54 op_sel:[0,0,1]              // 000000005F68: D2A24038 00026D35
	v_cvt_off_f32_i4_sdwa v53, v55 dst_sel:DWORD dst_unused:UNUSED_PRESERVE src0_sel:BYTE_1// 000000005F70: 7E6A1CF9 00011637
	v_cvt_off_f32_i4_sdwa v54, v55 dst_sel:DWORD dst_unused:UNUSED_PRESERVE src0_sel:BYTE_3// 000000005F78: 7E6C1CF9 00031637
	v_cvt_pk_fp8_f32 v57, v53, v54 op_sel:[0,0,1]              // 000000005F80: D2A24039 00026D35
	v_accvgpr_write_b32 a154, v56                              // 000000005F88: D3D9409A 18000138
	v_accvgpr_write_b32 a155, v57                              // 000000005F90: D3D9409B 18000139
	s_nop 3                                                    // 000000005F98: BF800003
	v_mfma_f32_16x16x32_fp8_fp8 v[72:75], a[154:155], v[202:203], v[72:75]// 000000005F9C: D3F30048 0D23959A
	v_accvgpr_read_b32 v52, a206                               // 000000005FA4: D3D84034 180001CE
	v_cvt_off_f32_i4_e32 v53, v52                              // 000000005FAC: 7E6A1D34
	v_cvt_off_f32_i4_sdwa v54, v52 dst_sel:DWORD dst_unused:UNUSED_PRESERVE src0_sel:BYTE_2// 000000005FB0: 7E6C1CF9 00021634
	v_cvt_pk_fp8_f32 v56, v53, v54                             // 000000005FB8: D2A20038 00026D35
	v_cvt_off_f32_i4_sdwa v53, v52 dst_sel:DWORD dst_unused:UNUSED_PRESERVE src0_sel:BYTE_1// 000000005FC0: 7E6A1CF9 00011634
	v_cvt_off_f32_i4_sdwa v54, v52 dst_sel:DWORD dst_unused:UNUSED_PRESERVE src0_sel:BYTE_3// 000000005FC8: 7E6C1CF9 00031634
	v_cvt_pk_fp8_f32 v57, v53, v54                             // 000000005FD0: D2A20039 00026D35
	v_lshrrev_b32_e32 v55, 4, v52                              // 000000005FD8: 206E6884
	v_cvt_off_f32_i4_e32 v53, v55                              // 000000005FDC: 7E6A1D37
	v_cvt_off_f32_i4_sdwa v54, v55 dst_sel:DWORD dst_unused:UNUSED_PRESERVE src0_sel:BYTE_2// 000000005FE0: 7E6C1CF9 00021637
	v_cvt_pk_fp8_f32 v56, v53, v54 op_sel:[0,0,1]              // 000000005FE8: D2A24038 00026D35
	v_cvt_off_f32_i4_sdwa v53, v55 dst_sel:DWORD dst_unused:UNUSED_PRESERVE src0_sel:BYTE_1// 000000005FF0: 7E6A1CF9 00011637
	v_cvt_off_f32_i4_sdwa v54, v55 dst_sel:DWORD dst_unused:UNUSED_PRESERVE src0_sel:BYTE_3// 000000005FF8: 7E6C1CF9 00031637
	v_cvt_pk_fp8_f32 v57, v53, v54 op_sel:[0,0,1]              // 000000006000: D2A24039 00026D35
	v_accvgpr_write_b32 a156, v56                              // 000000006008: D3D9409C 18000138
	v_accvgpr_write_b32 a157, v57                              // 000000006010: D3D9409D 18000139
	s_nop 3                                                    // 000000006018: BF800003
	v_mfma_f32_16x16x32_fp8_fp8 v[72:75], a[156:157], v[204:205], v[72:75]// 00000000601C: D3F30048 0D23999C
	v_accvgpr_read_b32 v52, a207                               // 000000006024: D3D84034 180001CF
	v_cvt_off_f32_i4_e32 v53, v52                              // 00000000602C: 7E6A1D34
	v_cvt_off_f32_i4_sdwa v54, v52 dst_sel:DWORD dst_unused:UNUSED_PRESERVE src0_sel:BYTE_2// 000000006030: 7E6C1CF9 00021634
	v_cvt_pk_fp8_f32 v56, v53, v54                             // 000000006038: D2A20038 00026D35
	v_cvt_off_f32_i4_sdwa v53, v52 dst_sel:DWORD dst_unused:UNUSED_PRESERVE src0_sel:BYTE_1// 000000006040: 7E6A1CF9 00011634
	v_cvt_off_f32_i4_sdwa v54, v52 dst_sel:DWORD dst_unused:UNUSED_PRESERVE src0_sel:BYTE_3// 000000006048: 7E6C1CF9 00031634
	v_cvt_pk_fp8_f32 v57, v53, v54                             // 000000006050: D2A20039 00026D35
	v_lshrrev_b32_e32 v55, 4, v52                              // 000000006058: 206E6884
	v_cvt_off_f32_i4_e32 v53, v55                              // 00000000605C: 7E6A1D37
	v_cvt_off_f32_i4_sdwa v54, v55 dst_sel:DWORD dst_unused:UNUSED_PRESERVE src0_sel:BYTE_2// 000000006060: 7E6C1CF9 00021637
	v_cvt_pk_fp8_f32 v56, v53, v54 op_sel:[0,0,1]              // 000000006068: D2A24038 00026D35
	v_cvt_off_f32_i4_sdwa v53, v55 dst_sel:DWORD dst_unused:UNUSED_PRESERVE src0_sel:BYTE_1// 000000006070: 7E6A1CF9 00011637
	v_cvt_off_f32_i4_sdwa v54, v55 dst_sel:DWORD dst_unused:UNUSED_PRESERVE src0_sel:BYTE_3// 000000006078: 7E6C1CF9 00031637
	v_cvt_pk_fp8_f32 v57, v53, v54 op_sel:[0,0,1]              // 000000006080: D2A24039 00026D35
	v_accvgpr_write_b32 a158, v56                              // 000000006088: D3D9409E 18000138
	v_accvgpr_write_b32 a159, v57                              // 000000006090: D3D9409F 18000139
	s_nop 3                                                    // 000000006098: BF800003
	v_mfma_f32_16x16x32_fp8_fp8 v[72:75], a[158:159], v[206:207], v[72:75]// 00000000609C: D3F30048 0D239D9E
	v_mfma_f32_16x16x32_fp8_fp8 v[76:79], a[144:145], v[208:209], v[76:79]// 0000000060A4: D3F3004C 0D33A190
	v_mfma_f32_16x16x32_fp8_fp8 v[76:79], a[146:147], v[210:211], v[76:79]// 0000000060AC: D3F3004C 0D33A592
	buffer_load_dwordx4 a[76:79], v35, s[24:27], 0 offen offset:1024// 0000000060B4: E05C1400 80864C23
	v_mfma_f32_16x16x32_fp8_fp8 v[76:79], a[148:149], v[212:213], v[76:79]// 0000000060BC: D3F3004C 0D33A994
	v_mfma_f32_16x16x32_fp8_fp8 v[76:79], a[150:151], v[214:215], v[76:79]// 0000000060C4: D3F3004C 0D33AD96
	v_mfma_f32_16x16x32_fp8_fp8 v[76:79], a[152:153], v[216:217], v[76:79]// 0000000060CC: D3F3004C 0D33B198
	v_mfma_f32_16x16x32_fp8_fp8 v[76:79], a[154:155], v[218:219], v[76:79]// 0000000060D4: D3F3004C 0D33B59A
	v_mfma_f32_16x16x32_fp8_fp8 v[76:79], a[156:157], v[220:221], v[76:79]// 0000000060DC: D3F3004C 0D33B99C
	v_mfma_f32_16x16x32_fp8_fp8 v[76:79], a[158:159], v[222:223], v[76:79]// 0000000060E4: D3F3004C 0D33BD9E
	s_waitcnt vmcnt(14)                                        // 0000000060EC: BF8C0F7E
	v_accvgpr_read_b32 v52, a208                               // 0000000060F0: D3D84034 180001D0
	v_cvt_off_f32_i4_e32 v53, v52                              // 0000000060F8: 7E6A1D34
	v_cvt_off_f32_i4_sdwa v54, v52 dst_sel:DWORD dst_unused:UNUSED_PRESERVE src0_sel:BYTE_2// 0000000060FC: 7E6C1CF9 00021634
	v_cvt_pk_fp8_f32 v56, v53, v54                             // 000000006104: D2A20038 00026D35
	v_cvt_off_f32_i4_sdwa v53, v52 dst_sel:DWORD dst_unused:UNUSED_PRESERVE src0_sel:BYTE_1// 00000000610C: 7E6A1CF9 00011634
	v_cvt_off_f32_i4_sdwa v54, v52 dst_sel:DWORD dst_unused:UNUSED_PRESERVE src0_sel:BYTE_3// 000000006114: 7E6C1CF9 00031634
	v_cvt_pk_fp8_f32 v57, v53, v54                             // 00000000611C: D2A20039 00026D35
	v_lshrrev_b32_e32 v55, 4, v52                              // 000000006124: 206E6884
	v_cvt_off_f32_i4_e32 v53, v55                              // 000000006128: 7E6A1D37
	v_cvt_off_f32_i4_sdwa v54, v55 dst_sel:DWORD dst_unused:UNUSED_PRESERVE src0_sel:BYTE_2// 00000000612C: 7E6C1CF9 00021637
	v_cvt_pk_fp8_f32 v56, v53, v54 op_sel:[0,0,1]              // 000000006134: D2A24038 00026D35
	v_cvt_off_f32_i4_sdwa v53, v55 dst_sel:DWORD dst_unused:UNUSED_PRESERVE src0_sel:BYTE_1// 00000000613C: 7E6A1CF9 00011637
	v_cvt_off_f32_i4_sdwa v54, v55 dst_sel:DWORD dst_unused:UNUSED_PRESERVE src0_sel:BYTE_3// 000000006144: 7E6C1CF9 00031637
	v_cvt_pk_fp8_f32 v57, v53, v54 op_sel:[0,0,1]              // 00000000614C: D2A24039 00026D35
	v_accvgpr_write_b32 a160, v56                              // 000000006154: D3D940A0 18000138
	v_accvgpr_write_b32 a161, v57                              // 00000000615C: D3D940A1 18000139
	s_nop 3                                                    // 000000006164: BF800003
	v_mfma_f32_16x16x32_fp8_fp8 v[80:83], a[160:161], v[192:193], v[80:83]// 000000006168: D3F30050 0D4381A0
	v_accvgpr_read_b32 v52, a209                               // 000000006170: D3D84034 180001D1
	v_cvt_off_f32_i4_e32 v53, v52                              // 000000006178: 7E6A1D34
	v_cvt_off_f32_i4_sdwa v54, v52 dst_sel:DWORD dst_unused:UNUSED_PRESERVE src0_sel:BYTE_2// 00000000617C: 7E6C1CF9 00021634
	v_cvt_pk_fp8_f32 v56, v53, v54                             // 000000006184: D2A20038 00026D35
	v_cvt_off_f32_i4_sdwa v53, v52 dst_sel:DWORD dst_unused:UNUSED_PRESERVE src0_sel:BYTE_1// 00000000618C: 7E6A1CF9 00011634
	v_cvt_off_f32_i4_sdwa v54, v52 dst_sel:DWORD dst_unused:UNUSED_PRESERVE src0_sel:BYTE_3// 000000006194: 7E6C1CF9 00031634
	v_cvt_pk_fp8_f32 v57, v53, v54                             // 00000000619C: D2A20039 00026D35
	v_lshrrev_b32_e32 v55, 4, v52                              // 0000000061A4: 206E6884
	v_cvt_off_f32_i4_e32 v53, v55                              // 0000000061A8: 7E6A1D37
	v_cvt_off_f32_i4_sdwa v54, v55 dst_sel:DWORD dst_unused:UNUSED_PRESERVE src0_sel:BYTE_2// 0000000061AC: 7E6C1CF9 00021637
	v_cvt_pk_fp8_f32 v56, v53, v54 op_sel:[0,0,1]              // 0000000061B4: D2A24038 00026D35
	v_cvt_off_f32_i4_sdwa v53, v55 dst_sel:DWORD dst_unused:UNUSED_PRESERVE src0_sel:BYTE_1// 0000000061BC: 7E6A1CF9 00011637
	v_cvt_off_f32_i4_sdwa v54, v55 dst_sel:DWORD dst_unused:UNUSED_PRESERVE src0_sel:BYTE_3// 0000000061C4: 7E6C1CF9 00031637
	v_cvt_pk_fp8_f32 v57, v53, v54 op_sel:[0,0,1]              // 0000000061CC: D2A24039 00026D35
	v_accvgpr_write_b32 a162, v56                              // 0000000061D4: D3D940A2 18000138
	v_accvgpr_write_b32 a163, v57                              // 0000000061DC: D3D940A3 18000139
	s_nop 3                                                    // 0000000061E4: BF800003
	v_mfma_f32_16x16x32_fp8_fp8 v[80:83], a[162:163], v[194:195], v[80:83]// 0000000061E8: D3F30050 0D4385A2
	buffer_load_dwordx4 a[80:83], v36, s[24:27], 0 offen       // 0000000061F0: E05C1000 80865024
	v_accvgpr_read_b32 v52, a210                               // 0000000061F8: D3D84034 180001D2
	v_cvt_off_f32_i4_e32 v53, v52                              // 000000006200: 7E6A1D34
	v_cvt_off_f32_i4_sdwa v54, v52 dst_sel:DWORD dst_unused:UNUSED_PRESERVE src0_sel:BYTE_2// 000000006204: 7E6C1CF9 00021634
	v_cvt_pk_fp8_f32 v56, v53, v54                             // 00000000620C: D2A20038 00026D35
	v_cvt_off_f32_i4_sdwa v53, v52 dst_sel:DWORD dst_unused:UNUSED_PRESERVE src0_sel:BYTE_1// 000000006214: 7E6A1CF9 00011634
	v_cvt_off_f32_i4_sdwa v54, v52 dst_sel:DWORD dst_unused:UNUSED_PRESERVE src0_sel:BYTE_3// 00000000621C: 7E6C1CF9 00031634
	v_cvt_pk_fp8_f32 v57, v53, v54                             // 000000006224: D2A20039 00026D35
	v_lshrrev_b32_e32 v55, 4, v52                              // 00000000622C: 206E6884
	v_cvt_off_f32_i4_e32 v53, v55                              // 000000006230: 7E6A1D37
	v_cvt_off_f32_i4_sdwa v54, v55 dst_sel:DWORD dst_unused:UNUSED_PRESERVE src0_sel:BYTE_2// 000000006234: 7E6C1CF9 00021637
	v_cvt_pk_fp8_f32 v56, v53, v54 op_sel:[0,0,1]              // 00000000623C: D2A24038 00026D35
	v_cvt_off_f32_i4_sdwa v53, v55 dst_sel:DWORD dst_unused:UNUSED_PRESERVE src0_sel:BYTE_1// 000000006244: 7E6A1CF9 00011637
	v_cvt_off_f32_i4_sdwa v54, v55 dst_sel:DWORD dst_unused:UNUSED_PRESERVE src0_sel:BYTE_3// 00000000624C: 7E6C1CF9 00031637
	v_cvt_pk_fp8_f32 v57, v53, v54 op_sel:[0,0,1]              // 000000006254: D2A24039 00026D35
	v_accvgpr_write_b32 a164, v56                              // 00000000625C: D3D940A4 18000138
	v_accvgpr_write_b32 a165, v57                              // 000000006264: D3D940A5 18000139
	s_nop 3                                                    // 00000000626C: BF800003
	v_mfma_f32_16x16x32_fp8_fp8 v[80:83], a[164:165], v[196:197], v[80:83]// 000000006270: D3F30050 0D4389A4
	v_accvgpr_read_b32 v52, a211                               // 000000006278: D3D84034 180001D3
	v_cvt_off_f32_i4_e32 v53, v52                              // 000000006280: 7E6A1D34
	v_cvt_off_f32_i4_sdwa v54, v52 dst_sel:DWORD dst_unused:UNUSED_PRESERVE src0_sel:BYTE_2// 000000006284: 7E6C1CF9 00021634
	v_cvt_pk_fp8_f32 v56, v53, v54                             // 00000000628C: D2A20038 00026D35
	v_cvt_off_f32_i4_sdwa v53, v52 dst_sel:DWORD dst_unused:UNUSED_PRESERVE src0_sel:BYTE_1// 000000006294: 7E6A1CF9 00011634
	v_cvt_off_f32_i4_sdwa v54, v52 dst_sel:DWORD dst_unused:UNUSED_PRESERVE src0_sel:BYTE_3// 00000000629C: 7E6C1CF9 00031634
	v_cvt_pk_fp8_f32 v57, v53, v54                             // 0000000062A4: D2A20039 00026D35
	v_lshrrev_b32_e32 v55, 4, v52                              // 0000000062AC: 206E6884
	v_cvt_off_f32_i4_e32 v53, v55                              // 0000000062B0: 7E6A1D37
	v_cvt_off_f32_i4_sdwa v54, v55 dst_sel:DWORD dst_unused:UNUSED_PRESERVE src0_sel:BYTE_2// 0000000062B4: 7E6C1CF9 00021637
	v_cvt_pk_fp8_f32 v56, v53, v54 op_sel:[0,0,1]              // 0000000062BC: D2A24038 00026D35
	v_cvt_off_f32_i4_sdwa v53, v55 dst_sel:DWORD dst_unused:UNUSED_PRESERVE src0_sel:BYTE_1// 0000000062C4: 7E6A1CF9 00011637
	v_cvt_off_f32_i4_sdwa v54, v55 dst_sel:DWORD dst_unused:UNUSED_PRESERVE src0_sel:BYTE_3// 0000000062CC: 7E6C1CF9 00031637
	v_cvt_pk_fp8_f32 v57, v53, v54 op_sel:[0,0,1]              // 0000000062D4: D2A24039 00026D35
	v_accvgpr_write_b32 a166, v56                              // 0000000062DC: D3D940A6 18000138
	v_accvgpr_write_b32 a167, v57                              // 0000000062E4: D3D940A7 18000139
	s_nop 3                                                    // 0000000062EC: BF800003
	v_mfma_f32_16x16x32_fp8_fp8 v[80:83], a[166:167], v[198:199], v[80:83]// 0000000062F0: D3F30050 0D438DA6
	ds_read_b128 v[224:227], v2 offset:8320                    // 0000000062F8: D9FE2080 E0000002
	v_accvgpr_read_b32 v52, a212                               // 000000006300: D3D84034 180001D4
	v_cvt_off_f32_i4_e32 v53, v52                              // 000000006308: 7E6A1D34
	v_cvt_off_f32_i4_sdwa v54, v52 dst_sel:DWORD dst_unused:UNUSED_PRESERVE src0_sel:BYTE_2// 00000000630C: 7E6C1CF9 00021634
	v_cvt_pk_fp8_f32 v56, v53, v54                             // 000000006314: D2A20038 00026D35
	v_cvt_off_f32_i4_sdwa v53, v52 dst_sel:DWORD dst_unused:UNUSED_PRESERVE src0_sel:BYTE_1// 00000000631C: 7E6A1CF9 00011634
	v_cvt_off_f32_i4_sdwa v54, v52 dst_sel:DWORD dst_unused:UNUSED_PRESERVE src0_sel:BYTE_3// 000000006324: 7E6C1CF9 00031634
	v_cvt_pk_fp8_f32 v57, v53, v54                             // 00000000632C: D2A20039 00026D35
	v_lshrrev_b32_e32 v55, 4, v52                              // 000000006334: 206E6884
	v_cvt_off_f32_i4_e32 v53, v55                              // 000000006338: 7E6A1D37
	v_cvt_off_f32_i4_sdwa v54, v55 dst_sel:DWORD dst_unused:UNUSED_PRESERVE src0_sel:BYTE_2// 00000000633C: 7E6C1CF9 00021637
	v_cvt_pk_fp8_f32 v56, v53, v54 op_sel:[0,0,1]              // 000000006344: D2A24038 00026D35
	v_cvt_off_f32_i4_sdwa v53, v55 dst_sel:DWORD dst_unused:UNUSED_PRESERVE src0_sel:BYTE_1// 00000000634C: 7E6A1CF9 00011637
	v_cvt_off_f32_i4_sdwa v54, v55 dst_sel:DWORD dst_unused:UNUSED_PRESERVE src0_sel:BYTE_3// 000000006354: 7E6C1CF9 00031637
	v_cvt_pk_fp8_f32 v57, v53, v54 op_sel:[0,0,1]              // 00000000635C: D2A24039 00026D35
	v_accvgpr_write_b32 a168, v56                              // 000000006364: D3D940A8 18000138
	v_accvgpr_write_b32 a169, v57                              // 00000000636C: D3D940A9 18000139
	s_nop 3                                                    // 000000006374: BF800003
	v_mfma_f32_16x16x32_fp8_fp8 v[80:83], a[168:169], v[200:201], v[80:83]// 000000006378: D3F30050 0D4391A8
	v_accvgpr_read_b32 v52, a213                               // 000000006380: D3D84034 180001D5
	v_cvt_off_f32_i4_e32 v53, v52                              // 000000006388: 7E6A1D34
	v_cvt_off_f32_i4_sdwa v54, v52 dst_sel:DWORD dst_unused:UNUSED_PRESERVE src0_sel:BYTE_2// 00000000638C: 7E6C1CF9 00021634
	v_cvt_pk_fp8_f32 v56, v53, v54                             // 000000006394: D2A20038 00026D35
	v_cvt_off_f32_i4_sdwa v53, v52 dst_sel:DWORD dst_unused:UNUSED_PRESERVE src0_sel:BYTE_1// 00000000639C: 7E6A1CF9 00011634
	v_cvt_off_f32_i4_sdwa v54, v52 dst_sel:DWORD dst_unused:UNUSED_PRESERVE src0_sel:BYTE_3// 0000000063A4: 7E6C1CF9 00031634
	v_cvt_pk_fp8_f32 v57, v53, v54                             // 0000000063AC: D2A20039 00026D35
	v_lshrrev_b32_e32 v55, 4, v52                              // 0000000063B4: 206E6884
	v_cvt_off_f32_i4_e32 v53, v55                              // 0000000063B8: 7E6A1D37
	v_cvt_off_f32_i4_sdwa v54, v55 dst_sel:DWORD dst_unused:UNUSED_PRESERVE src0_sel:BYTE_2// 0000000063BC: 7E6C1CF9 00021637
	v_cvt_pk_fp8_f32 v56, v53, v54 op_sel:[0,0,1]              // 0000000063C4: D2A24038 00026D35
	v_cvt_off_f32_i4_sdwa v53, v55 dst_sel:DWORD dst_unused:UNUSED_PRESERVE src0_sel:BYTE_1// 0000000063CC: 7E6A1CF9 00011637
	v_cvt_off_f32_i4_sdwa v54, v55 dst_sel:DWORD dst_unused:UNUSED_PRESERVE src0_sel:BYTE_3// 0000000063D4: 7E6C1CF9 00031637
	v_cvt_pk_fp8_f32 v57, v53, v54 op_sel:[0,0,1]              // 0000000063DC: D2A24039 00026D35
	v_accvgpr_write_b32 a170, v56                              // 0000000063E4: D3D940AA 18000138
	v_accvgpr_write_b32 a171, v57                              // 0000000063EC: D3D940AB 18000139
	s_nop 3                                                    // 0000000063F4: BF800003
	v_mfma_f32_16x16x32_fp8_fp8 v[80:83], a[170:171], v[202:203], v[80:83]// 0000000063F8: D3F30050 0D4395AA
	v_accvgpr_read_b32 v52, a214                               // 000000006400: D3D84034 180001D6
	v_cvt_off_f32_i4_e32 v53, v52                              // 000000006408: 7E6A1D34
	v_cvt_off_f32_i4_sdwa v54, v52 dst_sel:DWORD dst_unused:UNUSED_PRESERVE src0_sel:BYTE_2// 00000000640C: 7E6C1CF9 00021634
	v_cvt_pk_fp8_f32 v56, v53, v54                             // 000000006414: D2A20038 00026D35
	v_cvt_off_f32_i4_sdwa v53, v52 dst_sel:DWORD dst_unused:UNUSED_PRESERVE src0_sel:BYTE_1// 00000000641C: 7E6A1CF9 00011634
	v_cvt_off_f32_i4_sdwa v54, v52 dst_sel:DWORD dst_unused:UNUSED_PRESERVE src0_sel:BYTE_3// 000000006424: 7E6C1CF9 00031634
	v_cvt_pk_fp8_f32 v57, v53, v54                             // 00000000642C: D2A20039 00026D35
	v_lshrrev_b32_e32 v55, 4, v52                              // 000000006434: 206E6884
	v_cvt_off_f32_i4_e32 v53, v55                              // 000000006438: 7E6A1D37
	v_cvt_off_f32_i4_sdwa v54, v55 dst_sel:DWORD dst_unused:UNUSED_PRESERVE src0_sel:BYTE_2// 00000000643C: 7E6C1CF9 00021637
	v_cvt_pk_fp8_f32 v56, v53, v54 op_sel:[0,0,1]              // 000000006444: D2A24038 00026D35
	v_cvt_off_f32_i4_sdwa v53, v55 dst_sel:DWORD dst_unused:UNUSED_PRESERVE src0_sel:BYTE_1// 00000000644C: 7E6A1CF9 00011637
	v_cvt_off_f32_i4_sdwa v54, v55 dst_sel:DWORD dst_unused:UNUSED_PRESERVE src0_sel:BYTE_3// 000000006454: 7E6C1CF9 00031637
	v_cvt_pk_fp8_f32 v57, v53, v54 op_sel:[0,0,1]              // 00000000645C: D2A24039 00026D35
	v_accvgpr_write_b32 a172, v56                              // 000000006464: D3D940AC 18000138
	v_accvgpr_write_b32 a173, v57                              // 00000000646C: D3D940AD 18000139
	s_nop 3                                                    // 000000006474: BF800003
	v_mfma_f32_16x16x32_fp8_fp8 v[80:83], a[172:173], v[204:205], v[80:83]// 000000006478: D3F30050 0D4399AC
	v_accvgpr_read_b32 v52, a215                               // 000000006480: D3D84034 180001D7
	v_cvt_off_f32_i4_e32 v53, v52                              // 000000006488: 7E6A1D34
	v_cvt_off_f32_i4_sdwa v54, v52 dst_sel:DWORD dst_unused:UNUSED_PRESERVE src0_sel:BYTE_2// 00000000648C: 7E6C1CF9 00021634
	v_cvt_pk_fp8_f32 v56, v53, v54                             // 000000006494: D2A20038 00026D35
	v_cvt_off_f32_i4_sdwa v53, v52 dst_sel:DWORD dst_unused:UNUSED_PRESERVE src0_sel:BYTE_1// 00000000649C: 7E6A1CF9 00011634
	v_cvt_off_f32_i4_sdwa v54, v52 dst_sel:DWORD dst_unused:UNUSED_PRESERVE src0_sel:BYTE_3// 0000000064A4: 7E6C1CF9 00031634
	v_cvt_pk_fp8_f32 v57, v53, v54                             // 0000000064AC: D2A20039 00026D35
	v_lshrrev_b32_e32 v55, 4, v52                              // 0000000064B4: 206E6884
	v_cvt_off_f32_i4_e32 v53, v55                              // 0000000064B8: 7E6A1D37
	v_cvt_off_f32_i4_sdwa v54, v55 dst_sel:DWORD dst_unused:UNUSED_PRESERVE src0_sel:BYTE_2// 0000000064BC: 7E6C1CF9 00021637
	v_cvt_pk_fp8_f32 v56, v53, v54 op_sel:[0,0,1]              // 0000000064C4: D2A24038 00026D35
	v_cvt_off_f32_i4_sdwa v53, v55 dst_sel:DWORD dst_unused:UNUSED_PRESERVE src0_sel:BYTE_1// 0000000064CC: 7E6A1CF9 00011637
	v_cvt_off_f32_i4_sdwa v54, v55 dst_sel:DWORD dst_unused:UNUSED_PRESERVE src0_sel:BYTE_3// 0000000064D4: 7E6C1CF9 00031637
	v_cvt_pk_fp8_f32 v57, v53, v54 op_sel:[0,0,1]              // 0000000064DC: D2A24039 00026D35
	v_accvgpr_write_b32 a174, v56                              // 0000000064E4: D3D940AE 18000138
	v_accvgpr_write_b32 a175, v57                              // 0000000064EC: D3D940AF 18000139
	s_nop 3                                                    // 0000000064F4: BF800003
	v_mfma_f32_16x16x32_fp8_fp8 v[80:83], a[174:175], v[206:207], v[80:83]// 0000000064F8: D3F30050 0D439DAE
	ds_read_b128 v[228:231], v2 offset:8336                    // 000000006500: D9FE2090 E4000002
	v_mfma_f32_16x16x32_fp8_fp8 v[84:87], a[160:161], v[208:209], v[84:87]// 000000006508: D3F30054 0D53A1A0
	v_mfma_f32_16x16x32_fp8_fp8 v[84:87], a[162:163], v[210:211], v[84:87]// 000000006510: D3F30054 0D53A5A2
	buffer_load_dwordx4 a[84:87], v36, s[24:27], 0 offen offset:1024// 000000006518: E05C1400 80865424
	v_mfma_f32_16x16x32_fp8_fp8 v[84:87], a[164:165], v[212:213], v[84:87]// 000000006520: D3F30054 0D53A9A4
	v_mfma_f32_16x16x32_fp8_fp8 v[84:87], a[166:167], v[214:215], v[84:87]// 000000006528: D3F30054 0D53ADA6
	ds_read_b128 v[232:235], v2 offset:8448                    // 000000006530: D9FE2100 E8000002
	v_mfma_f32_16x16x32_fp8_fp8 v[84:87], a[168:169], v[216:217], v[84:87]// 000000006538: D3F30054 0D53B1A8
	v_mfma_f32_16x16x32_fp8_fp8 v[84:87], a[170:171], v[218:219], v[84:87]// 000000006540: D3F30054 0D53B5AA
	v_mfma_f32_16x16x32_fp8_fp8 v[84:87], a[172:173], v[220:221], v[84:87]// 000000006548: D3F30054 0D53B9AC
	v_mfma_f32_16x16x32_fp8_fp8 v[84:87], a[174:175], v[222:223], v[84:87]// 000000006550: D3F30054 0D53BDAE
	ds_read_b128 v[236:239], v2 offset:8464                    // 000000006558: D9FE2110 EC000002
	s_waitcnt vmcnt(14)                                        // 000000006560: BF8C0F7E
	v_accvgpr_read_b32 v52, a216                               // 000000006564: D3D84034 180001D8
	v_cvt_off_f32_i4_e32 v53, v52                              // 00000000656C: 7E6A1D34
	v_cvt_off_f32_i4_sdwa v54, v52 dst_sel:DWORD dst_unused:UNUSED_PRESERVE src0_sel:BYTE_2// 000000006570: 7E6C1CF9 00021634
	v_cvt_pk_fp8_f32 v56, v53, v54                             // 000000006578: D2A20038 00026D35
	v_cvt_off_f32_i4_sdwa v53, v52 dst_sel:DWORD dst_unused:UNUSED_PRESERVE src0_sel:BYTE_1// 000000006580: 7E6A1CF9 00011634
	v_cvt_off_f32_i4_sdwa v54, v52 dst_sel:DWORD dst_unused:UNUSED_PRESERVE src0_sel:BYTE_3// 000000006588: 7E6C1CF9 00031634
	v_cvt_pk_fp8_f32 v57, v53, v54                             // 000000006590: D2A20039 00026D35
	v_lshrrev_b32_e32 v55, 4, v52                              // 000000006598: 206E6884
	v_cvt_off_f32_i4_e32 v53, v55                              // 00000000659C: 7E6A1D37
	v_cvt_off_f32_i4_sdwa v54, v55 dst_sel:DWORD dst_unused:UNUSED_PRESERVE src0_sel:BYTE_2// 0000000065A0: 7E6C1CF9 00021637
	v_cvt_pk_fp8_f32 v56, v53, v54 op_sel:[0,0,1]              // 0000000065A8: D2A24038 00026D35
	v_cvt_off_f32_i4_sdwa v53, v55 dst_sel:DWORD dst_unused:UNUSED_PRESERVE src0_sel:BYTE_1// 0000000065B0: 7E6A1CF9 00011637
	v_cvt_off_f32_i4_sdwa v54, v55 dst_sel:DWORD dst_unused:UNUSED_PRESERVE src0_sel:BYTE_3// 0000000065B8: 7E6C1CF9 00031637
	v_cvt_pk_fp8_f32 v57, v53, v54 op_sel:[0,0,1]              // 0000000065C0: D2A24039 00026D35
	v_accvgpr_write_b32 a176, v56                              // 0000000065C8: D3D940B0 18000138
	v_accvgpr_write_b32 a177, v57                              // 0000000065D0: D3D940B1 18000139
	s_nop 3                                                    // 0000000065D8: BF800003
	v_mfma_f32_16x16x32_fp8_fp8 v[88:91], a[176:177], v[192:193], v[88:91]// 0000000065DC: D3F30058 0D6381B0
	v_accvgpr_read_b32 v52, a217                               // 0000000065E4: D3D84034 180001D9
	v_cvt_off_f32_i4_e32 v53, v52                              // 0000000065EC: 7E6A1D34
	v_cvt_off_f32_i4_sdwa v54, v52 dst_sel:DWORD dst_unused:UNUSED_PRESERVE src0_sel:BYTE_2// 0000000065F0: 7E6C1CF9 00021634
	v_cvt_pk_fp8_f32 v56, v53, v54                             // 0000000065F8: D2A20038 00026D35
	v_cvt_off_f32_i4_sdwa v53, v52 dst_sel:DWORD dst_unused:UNUSED_PRESERVE src0_sel:BYTE_1// 000000006600: 7E6A1CF9 00011634
	v_cvt_off_f32_i4_sdwa v54, v52 dst_sel:DWORD dst_unused:UNUSED_PRESERVE src0_sel:BYTE_3// 000000006608: 7E6C1CF9 00031634
	v_cvt_pk_fp8_f32 v57, v53, v54                             // 000000006610: D2A20039 00026D35
	v_lshrrev_b32_e32 v55, 4, v52                              // 000000006618: 206E6884
	v_cvt_off_f32_i4_e32 v53, v55                              // 00000000661C: 7E6A1D37
	v_cvt_off_f32_i4_sdwa v54, v55 dst_sel:DWORD dst_unused:UNUSED_PRESERVE src0_sel:BYTE_2// 000000006620: 7E6C1CF9 00021637
	v_cvt_pk_fp8_f32 v56, v53, v54 op_sel:[0,0,1]              // 000000006628: D2A24038 00026D35
	v_cvt_off_f32_i4_sdwa v53, v55 dst_sel:DWORD dst_unused:UNUSED_PRESERVE src0_sel:BYTE_1// 000000006630: 7E6A1CF9 00011637
	v_cvt_off_f32_i4_sdwa v54, v55 dst_sel:DWORD dst_unused:UNUSED_PRESERVE src0_sel:BYTE_3// 000000006638: 7E6C1CF9 00031637
	v_cvt_pk_fp8_f32 v57, v53, v54 op_sel:[0,0,1]              // 000000006640: D2A24039 00026D35
	v_accvgpr_write_b32 a178, v56                              // 000000006648: D3D940B2 18000138
	v_accvgpr_write_b32 a179, v57                              // 000000006650: D3D940B3 18000139
	s_nop 3                                                    // 000000006658: BF800003
	v_mfma_f32_16x16x32_fp8_fp8 v[88:91], a[178:179], v[194:195], v[88:91]// 00000000665C: D3F30058 0D6385B2
	buffer_load_dwordx4 a[88:91], v37, s[24:27], 0 offen       // 000000006664: E05C1000 80865825
	v_accvgpr_read_b32 v52, a218                               // 00000000666C: D3D84034 180001DA
	v_cvt_off_f32_i4_e32 v53, v52                              // 000000006674: 7E6A1D34
	v_cvt_off_f32_i4_sdwa v54, v52 dst_sel:DWORD dst_unused:UNUSED_PRESERVE src0_sel:BYTE_2// 000000006678: 7E6C1CF9 00021634
	v_cvt_pk_fp8_f32 v56, v53, v54                             // 000000006680: D2A20038 00026D35
	v_cvt_off_f32_i4_sdwa v53, v52 dst_sel:DWORD dst_unused:UNUSED_PRESERVE src0_sel:BYTE_1// 000000006688: 7E6A1CF9 00011634
	v_cvt_off_f32_i4_sdwa v54, v52 dst_sel:DWORD dst_unused:UNUSED_PRESERVE src0_sel:BYTE_3// 000000006690: 7E6C1CF9 00031634
	v_cvt_pk_fp8_f32 v57, v53, v54                             // 000000006698: D2A20039 00026D35
	v_lshrrev_b32_e32 v55, 4, v52                              // 0000000066A0: 206E6884
	v_cvt_off_f32_i4_e32 v53, v55                              // 0000000066A4: 7E6A1D37
	v_cvt_off_f32_i4_sdwa v54, v55 dst_sel:DWORD dst_unused:UNUSED_PRESERVE src0_sel:BYTE_2// 0000000066A8: 7E6C1CF9 00021637
	v_cvt_pk_fp8_f32 v56, v53, v54 op_sel:[0,0,1]              // 0000000066B0: D2A24038 00026D35
	v_cvt_off_f32_i4_sdwa v53, v55 dst_sel:DWORD dst_unused:UNUSED_PRESERVE src0_sel:BYTE_1// 0000000066B8: 7E6A1CF9 00011637
	v_cvt_off_f32_i4_sdwa v54, v55 dst_sel:DWORD dst_unused:UNUSED_PRESERVE src0_sel:BYTE_3// 0000000066C0: 7E6C1CF9 00031637
	v_cvt_pk_fp8_f32 v57, v53, v54 op_sel:[0,0,1]              // 0000000066C8: D2A24039 00026D35
	v_accvgpr_write_b32 a180, v56                              // 0000000066D0: D3D940B4 18000138
	v_accvgpr_write_b32 a181, v57                              // 0000000066D8: D3D940B5 18000139
	s_nop 3                                                    // 0000000066E0: BF800003
	v_mfma_f32_16x16x32_fp8_fp8 v[88:91], a[180:181], v[196:197], v[88:91]// 0000000066E4: D3F30058 0D6389B4
	v_accvgpr_read_b32 v52, a219                               // 0000000066EC: D3D84034 180001DB
	v_cvt_off_f32_i4_e32 v53, v52                              // 0000000066F4: 7E6A1D34
	v_cvt_off_f32_i4_sdwa v54, v52 dst_sel:DWORD dst_unused:UNUSED_PRESERVE src0_sel:BYTE_2// 0000000066F8: 7E6C1CF9 00021634
	v_cvt_pk_fp8_f32 v56, v53, v54                             // 000000006700: D2A20038 00026D35
	v_cvt_off_f32_i4_sdwa v53, v52 dst_sel:DWORD dst_unused:UNUSED_PRESERVE src0_sel:BYTE_1// 000000006708: 7E6A1CF9 00011634
	v_cvt_off_f32_i4_sdwa v54, v52 dst_sel:DWORD dst_unused:UNUSED_PRESERVE src0_sel:BYTE_3// 000000006710: 7E6C1CF9 00031634
	v_cvt_pk_fp8_f32 v57, v53, v54                             // 000000006718: D2A20039 00026D35
	v_lshrrev_b32_e32 v55, 4, v52                              // 000000006720: 206E6884
	v_cvt_off_f32_i4_e32 v53, v55                              // 000000006724: 7E6A1D37
	v_cvt_off_f32_i4_sdwa v54, v55 dst_sel:DWORD dst_unused:UNUSED_PRESERVE src0_sel:BYTE_2// 000000006728: 7E6C1CF9 00021637
	v_cvt_pk_fp8_f32 v56, v53, v54 op_sel:[0,0,1]              // 000000006730: D2A24038 00026D35
	v_cvt_off_f32_i4_sdwa v53, v55 dst_sel:DWORD dst_unused:UNUSED_PRESERVE src0_sel:BYTE_1// 000000006738: 7E6A1CF9 00011637
	v_cvt_off_f32_i4_sdwa v54, v55 dst_sel:DWORD dst_unused:UNUSED_PRESERVE src0_sel:BYTE_3// 000000006740: 7E6C1CF9 00031637
	v_cvt_pk_fp8_f32 v57, v53, v54 op_sel:[0,0,1]              // 000000006748: D2A24039 00026D35
	v_accvgpr_write_b32 a182, v56                              // 000000006750: D3D940B6 18000138
	v_accvgpr_write_b32 a183, v57                              // 000000006758: D3D940B7 18000139
	s_nop 3                                                    // 000000006760: BF800003
	v_mfma_f32_16x16x32_fp8_fp8 v[88:91], a[182:183], v[198:199], v[88:91]// 000000006764: D3F30058 0D638DB6
	ds_read_b128 v[240:243], v2 offset:9344                    // 00000000676C: D9FE2480 F0000002
	v_accvgpr_read_b32 v52, a220                               // 000000006774: D3D84034 180001DC
	v_cvt_off_f32_i4_e32 v53, v52                              // 00000000677C: 7E6A1D34
	v_cvt_off_f32_i4_sdwa v54, v52 dst_sel:DWORD dst_unused:UNUSED_PRESERVE src0_sel:BYTE_2// 000000006780: 7E6C1CF9 00021634
	v_cvt_pk_fp8_f32 v56, v53, v54                             // 000000006788: D2A20038 00026D35
	v_cvt_off_f32_i4_sdwa v53, v52 dst_sel:DWORD dst_unused:UNUSED_PRESERVE src0_sel:BYTE_1// 000000006790: 7E6A1CF9 00011634
	v_cvt_off_f32_i4_sdwa v54, v52 dst_sel:DWORD dst_unused:UNUSED_PRESERVE src0_sel:BYTE_3// 000000006798: 7E6C1CF9 00031634
	v_cvt_pk_fp8_f32 v57, v53, v54                             // 0000000067A0: D2A20039 00026D35
	v_lshrrev_b32_e32 v55, 4, v52                              // 0000000067A8: 206E6884
	v_cvt_off_f32_i4_e32 v53, v55                              // 0000000067AC: 7E6A1D37
	v_cvt_off_f32_i4_sdwa v54, v55 dst_sel:DWORD dst_unused:UNUSED_PRESERVE src0_sel:BYTE_2// 0000000067B0: 7E6C1CF9 00021637
	v_cvt_pk_fp8_f32 v56, v53, v54 op_sel:[0,0,1]              // 0000000067B8: D2A24038 00026D35
	v_cvt_off_f32_i4_sdwa v53, v55 dst_sel:DWORD dst_unused:UNUSED_PRESERVE src0_sel:BYTE_1// 0000000067C0: 7E6A1CF9 00011637
	v_cvt_off_f32_i4_sdwa v54, v55 dst_sel:DWORD dst_unused:UNUSED_PRESERVE src0_sel:BYTE_3// 0000000067C8: 7E6C1CF9 00031637
	v_cvt_pk_fp8_f32 v57, v53, v54 op_sel:[0,0,1]              // 0000000067D0: D2A24039 00026D35
	v_accvgpr_write_b32 a184, v56                              // 0000000067D8: D3D940B8 18000138
	v_accvgpr_write_b32 a185, v57                              // 0000000067E0: D3D940B9 18000139
	s_nop 3                                                    // 0000000067E8: BF800003
	v_mfma_f32_16x16x32_fp8_fp8 v[88:91], a[184:185], v[200:201], v[88:91]// 0000000067EC: D3F30058 0D6391B8
	v_accvgpr_read_b32 v52, a221                               // 0000000067F4: D3D84034 180001DD
	v_cvt_off_f32_i4_e32 v53, v52                              // 0000000067FC: 7E6A1D34
	v_cvt_off_f32_i4_sdwa v54, v52 dst_sel:DWORD dst_unused:UNUSED_PRESERVE src0_sel:BYTE_2// 000000006800: 7E6C1CF9 00021634
	v_cvt_pk_fp8_f32 v56, v53, v54                             // 000000006808: D2A20038 00026D35
	v_cvt_off_f32_i4_sdwa v53, v52 dst_sel:DWORD dst_unused:UNUSED_PRESERVE src0_sel:BYTE_1// 000000006810: 7E6A1CF9 00011634
	v_cvt_off_f32_i4_sdwa v54, v52 dst_sel:DWORD dst_unused:UNUSED_PRESERVE src0_sel:BYTE_3// 000000006818: 7E6C1CF9 00031634
	v_cvt_pk_fp8_f32 v57, v53, v54                             // 000000006820: D2A20039 00026D35
	v_lshrrev_b32_e32 v55, 4, v52                              // 000000006828: 206E6884
	v_cvt_off_f32_i4_e32 v53, v55                              // 00000000682C: 7E6A1D37
	v_cvt_off_f32_i4_sdwa v54, v55 dst_sel:DWORD dst_unused:UNUSED_PRESERVE src0_sel:BYTE_2// 000000006830: 7E6C1CF9 00021637
	v_cvt_pk_fp8_f32 v56, v53, v54 op_sel:[0,0,1]              // 000000006838: D2A24038 00026D35
	v_cvt_off_f32_i4_sdwa v53, v55 dst_sel:DWORD dst_unused:UNUSED_PRESERVE src0_sel:BYTE_1// 000000006840: 7E6A1CF9 00011637
	v_cvt_off_f32_i4_sdwa v54, v55 dst_sel:DWORD dst_unused:UNUSED_PRESERVE src0_sel:BYTE_3// 000000006848: 7E6C1CF9 00031637
	v_cvt_pk_fp8_f32 v57, v53, v54 op_sel:[0,0,1]              // 000000006850: D2A24039 00026D35
	v_accvgpr_write_b32 a186, v56                              // 000000006858: D3D940BA 18000138
	v_accvgpr_write_b32 a187, v57                              // 000000006860: D3D940BB 18000139
	s_nop 3                                                    // 000000006868: BF800003
	v_mfma_f32_16x16x32_fp8_fp8 v[88:91], a[186:187], v[202:203], v[88:91]// 00000000686C: D3F30058 0D6395BA
	v_accvgpr_read_b32 v52, a222                               // 000000006874: D3D84034 180001DE
	v_cvt_off_f32_i4_e32 v53, v52                              // 00000000687C: 7E6A1D34
	v_cvt_off_f32_i4_sdwa v54, v52 dst_sel:DWORD dst_unused:UNUSED_PRESERVE src0_sel:BYTE_2// 000000006880: 7E6C1CF9 00021634
	v_cvt_pk_fp8_f32 v56, v53, v54                             // 000000006888: D2A20038 00026D35
	v_cvt_off_f32_i4_sdwa v53, v52 dst_sel:DWORD dst_unused:UNUSED_PRESERVE src0_sel:BYTE_1// 000000006890: 7E6A1CF9 00011634
	v_cvt_off_f32_i4_sdwa v54, v52 dst_sel:DWORD dst_unused:UNUSED_PRESERVE src0_sel:BYTE_3// 000000006898: 7E6C1CF9 00031634
	v_cvt_pk_fp8_f32 v57, v53, v54                             // 0000000068A0: D2A20039 00026D35
	v_lshrrev_b32_e32 v55, 4, v52                              // 0000000068A8: 206E6884
	v_cvt_off_f32_i4_e32 v53, v55                              // 0000000068AC: 7E6A1D37
	v_cvt_off_f32_i4_sdwa v54, v55 dst_sel:DWORD dst_unused:UNUSED_PRESERVE src0_sel:BYTE_2// 0000000068B0: 7E6C1CF9 00021637
	v_cvt_pk_fp8_f32 v56, v53, v54 op_sel:[0,0,1]              // 0000000068B8: D2A24038 00026D35
	v_cvt_off_f32_i4_sdwa v53, v55 dst_sel:DWORD dst_unused:UNUSED_PRESERVE src0_sel:BYTE_1// 0000000068C0: 7E6A1CF9 00011637
	v_cvt_off_f32_i4_sdwa v54, v55 dst_sel:DWORD dst_unused:UNUSED_PRESERVE src0_sel:BYTE_3// 0000000068C8: 7E6C1CF9 00031637
	v_cvt_pk_fp8_f32 v57, v53, v54 op_sel:[0,0,1]              // 0000000068D0: D2A24039 00026D35
	v_accvgpr_write_b32 a188, v56                              // 0000000068D8: D3D940BC 18000138
	v_accvgpr_write_b32 a189, v57                              // 0000000068E0: D3D940BD 18000139
	s_nop 3                                                    // 0000000068E8: BF800003
	v_mfma_f32_16x16x32_fp8_fp8 v[88:91], a[188:189], v[204:205], v[88:91]// 0000000068EC: D3F30058 0D6399BC
	v_accvgpr_read_b32 v52, a223                               // 0000000068F4: D3D84034 180001DF
	v_cvt_off_f32_i4_e32 v53, v52                              // 0000000068FC: 7E6A1D34
	v_cvt_off_f32_i4_sdwa v54, v52 dst_sel:DWORD dst_unused:UNUSED_PRESERVE src0_sel:BYTE_2// 000000006900: 7E6C1CF9 00021634
	v_cvt_pk_fp8_f32 v56, v53, v54                             // 000000006908: D2A20038 00026D35
	v_cvt_off_f32_i4_sdwa v53, v52 dst_sel:DWORD dst_unused:UNUSED_PRESERVE src0_sel:BYTE_1// 000000006910: 7E6A1CF9 00011634
	v_cvt_off_f32_i4_sdwa v54, v52 dst_sel:DWORD dst_unused:UNUSED_PRESERVE src0_sel:BYTE_3// 000000006918: 7E6C1CF9 00031634
	v_cvt_pk_fp8_f32 v57, v53, v54                             // 000000006920: D2A20039 00026D35
	v_lshrrev_b32_e32 v55, 4, v52                              // 000000006928: 206E6884
	v_cvt_off_f32_i4_e32 v53, v55                              // 00000000692C: 7E6A1D37
	v_cvt_off_f32_i4_sdwa v54, v55 dst_sel:DWORD dst_unused:UNUSED_PRESERVE src0_sel:BYTE_2// 000000006930: 7E6C1CF9 00021637
	v_cvt_pk_fp8_f32 v56, v53, v54 op_sel:[0,0,1]              // 000000006938: D2A24038 00026D35
	v_cvt_off_f32_i4_sdwa v53, v55 dst_sel:DWORD dst_unused:UNUSED_PRESERVE src0_sel:BYTE_1// 000000006940: 7E6A1CF9 00011637
	v_cvt_off_f32_i4_sdwa v54, v55 dst_sel:DWORD dst_unused:UNUSED_PRESERVE src0_sel:BYTE_3// 000000006948: 7E6C1CF9 00031637
	v_cvt_pk_fp8_f32 v57, v53, v54 op_sel:[0,0,1]              // 000000006950: D2A24039 00026D35
	v_accvgpr_write_b32 a190, v56                              // 000000006958: D3D940BE 18000138
	v_accvgpr_write_b32 a191, v57                              // 000000006960: D3D940BF 18000139
	s_nop 3                                                    // 000000006968: BF800003
	v_mfma_f32_16x16x32_fp8_fp8 v[88:91], a[190:191], v[206:207], v[88:91]// 00000000696C: D3F30058 0D639DBE
	ds_read_b128 v[244:247], v2 offset:9360                    // 000000006974: D9FE2490 F4000002
	v_mfma_f32_16x16x32_fp8_fp8 v[92:95], a[176:177], v[208:209], v[92:95]// 00000000697C: D3F3005C 0D73A1B0
	v_mfma_f32_16x16x32_fp8_fp8 v[92:95], a[178:179], v[210:211], v[92:95]// 000000006984: D3F3005C 0D73A5B2
	buffer_load_dwordx4 a[92:95], v37, s[24:27], 0 offen offset:1024// 00000000698C: E05C1400 80865C25
	v_mfma_f32_16x16x32_fp8_fp8 v[92:95], a[180:181], v[212:213], v[92:95]// 000000006994: D3F3005C 0D73A9B4
	v_mfma_f32_16x16x32_fp8_fp8 v[92:95], a[182:183], v[214:215], v[92:95]// 00000000699C: D3F3005C 0D73ADB6
	ds_read_b128 v[248:251], v2 offset:9472                    // 0000000069A4: D9FE2500 F8000002
	v_mfma_f32_16x16x32_fp8_fp8 v[92:95], a[184:185], v[216:217], v[92:95]// 0000000069AC: D3F3005C 0D73B1B8
	v_mfma_f32_16x16x32_fp8_fp8 v[92:95], a[186:187], v[218:219], v[92:95]// 0000000069B4: D3F3005C 0D73B5BA
	v_mfma_f32_16x16x32_fp8_fp8 v[92:95], a[188:189], v[220:221], v[92:95]// 0000000069BC: D3F3005C 0D73B9BC
	v_mfma_f32_16x16x32_fp8_fp8 v[92:95], a[190:191], v[222:223], v[92:95]// 0000000069C4: D3F3005C 0D73BDBE
	ds_read_b128 v[252:255], v2 offset:9488                    // 0000000069CC: D9FE2510 FC000002
	s_waitcnt vmcnt(14)                                        // 0000000069D4: BF8C0F7E
	v_accvgpr_read_b32 v52, a224                               // 0000000069D8: D3D84034 180001E0
	v_cvt_off_f32_i4_e32 v53, v52                              // 0000000069E0: 7E6A1D34
	v_cvt_off_f32_i4_sdwa v54, v52 dst_sel:DWORD dst_unused:UNUSED_PRESERVE src0_sel:BYTE_2// 0000000069E4: 7E6C1CF9 00021634
	v_cvt_pk_fp8_f32 v56, v53, v54                             // 0000000069EC: D2A20038 00026D35
	v_cvt_off_f32_i4_sdwa v53, v52 dst_sel:DWORD dst_unused:UNUSED_PRESERVE src0_sel:BYTE_1// 0000000069F4: 7E6A1CF9 00011634
	v_cvt_off_f32_i4_sdwa v54, v52 dst_sel:DWORD dst_unused:UNUSED_PRESERVE src0_sel:BYTE_3// 0000000069FC: 7E6C1CF9 00031634
	v_cvt_pk_fp8_f32 v57, v53, v54                             // 000000006A04: D2A20039 00026D35
	v_lshrrev_b32_e32 v55, 4, v52                              // 000000006A0C: 206E6884
	v_cvt_off_f32_i4_e32 v53, v55                              // 000000006A10: 7E6A1D37
	v_cvt_off_f32_i4_sdwa v54, v55 dst_sel:DWORD dst_unused:UNUSED_PRESERVE src0_sel:BYTE_2// 000000006A14: 7E6C1CF9 00021637
	v_cvt_pk_fp8_f32 v56, v53, v54 op_sel:[0,0,1]              // 000000006A1C: D2A24038 00026D35
	v_cvt_off_f32_i4_sdwa v53, v55 dst_sel:DWORD dst_unused:UNUSED_PRESERVE src0_sel:BYTE_1// 000000006A24: 7E6A1CF9 00011637
	v_cvt_off_f32_i4_sdwa v54, v55 dst_sel:DWORD dst_unused:UNUSED_PRESERVE src0_sel:BYTE_3// 000000006A2C: 7E6C1CF9 00031637
	v_cvt_pk_fp8_f32 v57, v53, v54 op_sel:[0,0,1]              // 000000006A34: D2A24039 00026D35
	v_accvgpr_write_b32 a192, v56                              // 000000006A3C: D3D940C0 18000138
	v_accvgpr_write_b32 a193, v57                              // 000000006A44: D3D940C1 18000139
	s_nop 3                                                    // 000000006A4C: BF800003
	v_mfma_f32_16x16x32_fp8_fp8 v[96:99], a[192:193], v[192:193], v[96:99]// 000000006A50: D3F30060 0D8381C0
	v_accvgpr_read_b32 v52, a225                               // 000000006A58: D3D84034 180001E1
	v_cvt_off_f32_i4_e32 v53, v52                              // 000000006A60: 7E6A1D34
	v_cvt_off_f32_i4_sdwa v54, v52 dst_sel:DWORD dst_unused:UNUSED_PRESERVE src0_sel:BYTE_2// 000000006A64: 7E6C1CF9 00021634
	v_cvt_pk_fp8_f32 v56, v53, v54                             // 000000006A6C: D2A20038 00026D35
	v_cvt_off_f32_i4_sdwa v53, v52 dst_sel:DWORD dst_unused:UNUSED_PRESERVE src0_sel:BYTE_1// 000000006A74: 7E6A1CF9 00011634
	v_cvt_off_f32_i4_sdwa v54, v52 dst_sel:DWORD dst_unused:UNUSED_PRESERVE src0_sel:BYTE_3// 000000006A7C: 7E6C1CF9 00031634
	v_cvt_pk_fp8_f32 v57, v53, v54                             // 000000006A84: D2A20039 00026D35
	v_lshrrev_b32_e32 v55, 4, v52                              // 000000006A8C: 206E6884
	v_cvt_off_f32_i4_e32 v53, v55                              // 000000006A90: 7E6A1D37
	v_cvt_off_f32_i4_sdwa v54, v55 dst_sel:DWORD dst_unused:UNUSED_PRESERVE src0_sel:BYTE_2// 000000006A94: 7E6C1CF9 00021637
	v_cvt_pk_fp8_f32 v56, v53, v54 op_sel:[0,0,1]              // 000000006A9C: D2A24038 00026D35
	v_cvt_off_f32_i4_sdwa v53, v55 dst_sel:DWORD dst_unused:UNUSED_PRESERVE src0_sel:BYTE_1// 000000006AA4: 7E6A1CF9 00011637
	v_cvt_off_f32_i4_sdwa v54, v55 dst_sel:DWORD dst_unused:UNUSED_PRESERVE src0_sel:BYTE_3// 000000006AAC: 7E6C1CF9 00031637
	v_cvt_pk_fp8_f32 v57, v53, v54 op_sel:[0,0,1]              // 000000006AB4: D2A24039 00026D35
	v_accvgpr_write_b32 a194, v56                              // 000000006ABC: D3D940C2 18000138
	v_accvgpr_write_b32 a195, v57                              // 000000006AC4: D3D940C3 18000139
	s_nop 3                                                    // 000000006ACC: BF800003
	v_mfma_f32_16x16x32_fp8_fp8 v[96:99], a[194:195], v[194:195], v[96:99]// 000000006AD0: D3F30060 0D8385C2
	buffer_load_dwordx4 a[96:99], v38, s[24:27], 0 offen       // 000000006AD8: E05C1000 80866026
	v_accvgpr_read_b32 v52, a226                               // 000000006AE0: D3D84034 180001E2
	v_cvt_off_f32_i4_e32 v53, v52                              // 000000006AE8: 7E6A1D34
	v_cvt_off_f32_i4_sdwa v54, v52 dst_sel:DWORD dst_unused:UNUSED_PRESERVE src0_sel:BYTE_2// 000000006AEC: 7E6C1CF9 00021634
	v_cvt_pk_fp8_f32 v56, v53, v54                             // 000000006AF4: D2A20038 00026D35
	v_cvt_off_f32_i4_sdwa v53, v52 dst_sel:DWORD dst_unused:UNUSED_PRESERVE src0_sel:BYTE_1// 000000006AFC: 7E6A1CF9 00011634
	v_cvt_off_f32_i4_sdwa v54, v52 dst_sel:DWORD dst_unused:UNUSED_PRESERVE src0_sel:BYTE_3// 000000006B04: 7E6C1CF9 00031634
	v_cvt_pk_fp8_f32 v57, v53, v54                             // 000000006B0C: D2A20039 00026D35
	v_lshrrev_b32_e32 v55, 4, v52                              // 000000006B14: 206E6884
	v_cvt_off_f32_i4_e32 v53, v55                              // 000000006B18: 7E6A1D37
	v_cvt_off_f32_i4_sdwa v54, v55 dst_sel:DWORD dst_unused:UNUSED_PRESERVE src0_sel:BYTE_2// 000000006B1C: 7E6C1CF9 00021637
	v_cvt_pk_fp8_f32 v56, v53, v54 op_sel:[0,0,1]              // 000000006B24: D2A24038 00026D35
	v_cvt_off_f32_i4_sdwa v53, v55 dst_sel:DWORD dst_unused:UNUSED_PRESERVE src0_sel:BYTE_1// 000000006B2C: 7E6A1CF9 00011637
	v_cvt_off_f32_i4_sdwa v54, v55 dst_sel:DWORD dst_unused:UNUSED_PRESERVE src0_sel:BYTE_3// 000000006B34: 7E6C1CF9 00031637
	v_cvt_pk_fp8_f32 v57, v53, v54 op_sel:[0,0,1]              // 000000006B3C: D2A24039 00026D35
	v_accvgpr_write_b32 a196, v56                              // 000000006B44: D3D940C4 18000138
	v_accvgpr_write_b32 a197, v57                              // 000000006B4C: D3D940C5 18000139
	s_nop 3                                                    // 000000006B54: BF800003
	v_mfma_f32_16x16x32_fp8_fp8 v[96:99], a[196:197], v[196:197], v[96:99]// 000000006B58: D3F30060 0D8389C4
	v_accvgpr_read_b32 v52, a227                               // 000000006B60: D3D84034 180001E3
	v_cvt_off_f32_i4_e32 v53, v52                              // 000000006B68: 7E6A1D34
	v_cvt_off_f32_i4_sdwa v54, v52 dst_sel:DWORD dst_unused:UNUSED_PRESERVE src0_sel:BYTE_2// 000000006B6C: 7E6C1CF9 00021634
	v_cvt_pk_fp8_f32 v56, v53, v54                             // 000000006B74: D2A20038 00026D35
	v_cvt_off_f32_i4_sdwa v53, v52 dst_sel:DWORD dst_unused:UNUSED_PRESERVE src0_sel:BYTE_1// 000000006B7C: 7E6A1CF9 00011634
	v_cvt_off_f32_i4_sdwa v54, v52 dst_sel:DWORD dst_unused:UNUSED_PRESERVE src0_sel:BYTE_3// 000000006B84: 7E6C1CF9 00031634
	v_cvt_pk_fp8_f32 v57, v53, v54                             // 000000006B8C: D2A20039 00026D35
	v_lshrrev_b32_e32 v55, 4, v52                              // 000000006B94: 206E6884
	v_cvt_off_f32_i4_e32 v53, v55                              // 000000006B98: 7E6A1D37
	v_cvt_off_f32_i4_sdwa v54, v55 dst_sel:DWORD dst_unused:UNUSED_PRESERVE src0_sel:BYTE_2// 000000006B9C: 7E6C1CF9 00021637
	v_cvt_pk_fp8_f32 v56, v53, v54 op_sel:[0,0,1]              // 000000006BA4: D2A24038 00026D35
	v_cvt_off_f32_i4_sdwa v53, v55 dst_sel:DWORD dst_unused:UNUSED_PRESERVE src0_sel:BYTE_1// 000000006BAC: 7E6A1CF9 00011637
	v_cvt_off_f32_i4_sdwa v54, v55 dst_sel:DWORD dst_unused:UNUSED_PRESERVE src0_sel:BYTE_3// 000000006BB4: 7E6C1CF9 00031637
	v_cvt_pk_fp8_f32 v57, v53, v54 op_sel:[0,0,1]              // 000000006BBC: D2A24039 00026D35
	v_accvgpr_write_b32 a198, v56                              // 000000006BC4: D3D940C6 18000138
	v_accvgpr_write_b32 a199, v57                              // 000000006BCC: D3D940C7 18000139
	s_nop 3                                                    // 000000006BD4: BF800003
	v_mfma_f32_16x16x32_fp8_fp8 v[96:99], a[198:199], v[198:199], v[96:99]// 000000006BD8: D3F30060 0D838DC6
	v_accvgpr_read_b32 v52, a228                               // 000000006BE0: D3D84034 180001E4
	v_cvt_off_f32_i4_e32 v53, v52                              // 000000006BE8: 7E6A1D34
	v_cvt_off_f32_i4_sdwa v54, v52 dst_sel:DWORD dst_unused:UNUSED_PRESERVE src0_sel:BYTE_2// 000000006BEC: 7E6C1CF9 00021634
	v_cvt_pk_fp8_f32 v56, v53, v54                             // 000000006BF4: D2A20038 00026D35
	v_cvt_off_f32_i4_sdwa v53, v52 dst_sel:DWORD dst_unused:UNUSED_PRESERVE src0_sel:BYTE_1// 000000006BFC: 7E6A1CF9 00011634
	v_cvt_off_f32_i4_sdwa v54, v52 dst_sel:DWORD dst_unused:UNUSED_PRESERVE src0_sel:BYTE_3// 000000006C04: 7E6C1CF9 00031634
	v_cvt_pk_fp8_f32 v57, v53, v54                             // 000000006C0C: D2A20039 00026D35
	v_lshrrev_b32_e32 v55, 4, v52                              // 000000006C14: 206E6884
	v_cvt_off_f32_i4_e32 v53, v55                              // 000000006C18: 7E6A1D37
	v_cvt_off_f32_i4_sdwa v54, v55 dst_sel:DWORD dst_unused:UNUSED_PRESERVE src0_sel:BYTE_2// 000000006C1C: 7E6C1CF9 00021637
	v_cvt_pk_fp8_f32 v56, v53, v54 op_sel:[0,0,1]              // 000000006C24: D2A24038 00026D35
	v_cvt_off_f32_i4_sdwa v53, v55 dst_sel:DWORD dst_unused:UNUSED_PRESERVE src0_sel:BYTE_1// 000000006C2C: 7E6A1CF9 00011637
	v_cvt_off_f32_i4_sdwa v54, v55 dst_sel:DWORD dst_unused:UNUSED_PRESERVE src0_sel:BYTE_3// 000000006C34: 7E6C1CF9 00031637
	v_cvt_pk_fp8_f32 v57, v53, v54 op_sel:[0,0,1]              // 000000006C3C: D2A24039 00026D35
	v_accvgpr_write_b32 a200, v56                              // 000000006C44: D3D940C8 18000138
	v_accvgpr_write_b32 a201, v57                              // 000000006C4C: D3D940C9 18000139
	s_nop 3                                                    // 000000006C54: BF800003
	v_mfma_f32_16x16x32_fp8_fp8 v[96:99], a[200:201], v[200:201], v[96:99]// 000000006C58: D3F30060 0D8391C8
	v_accvgpr_read_b32 v52, a229                               // 000000006C60: D3D84034 180001E5
	v_cvt_off_f32_i4_e32 v53, v52                              // 000000006C68: 7E6A1D34
	v_cvt_off_f32_i4_sdwa v54, v52 dst_sel:DWORD dst_unused:UNUSED_PRESERVE src0_sel:BYTE_2// 000000006C6C: 7E6C1CF9 00021634
	v_cvt_pk_fp8_f32 v56, v53, v54                             // 000000006C74: D2A20038 00026D35
	v_cvt_off_f32_i4_sdwa v53, v52 dst_sel:DWORD dst_unused:UNUSED_PRESERVE src0_sel:BYTE_1// 000000006C7C: 7E6A1CF9 00011634
	v_cvt_off_f32_i4_sdwa v54, v52 dst_sel:DWORD dst_unused:UNUSED_PRESERVE src0_sel:BYTE_3// 000000006C84: 7E6C1CF9 00031634
	v_cvt_pk_fp8_f32 v57, v53, v54                             // 000000006C8C: D2A20039 00026D35
	v_lshrrev_b32_e32 v55, 4, v52                              // 000000006C94: 206E6884
	v_cvt_off_f32_i4_e32 v53, v55                              // 000000006C98: 7E6A1D37
	v_cvt_off_f32_i4_sdwa v54, v55 dst_sel:DWORD dst_unused:UNUSED_PRESERVE src0_sel:BYTE_2// 000000006C9C: 7E6C1CF9 00021637
	v_cvt_pk_fp8_f32 v56, v53, v54 op_sel:[0,0,1]              // 000000006CA4: D2A24038 00026D35
	v_cvt_off_f32_i4_sdwa v53, v55 dst_sel:DWORD dst_unused:UNUSED_PRESERVE src0_sel:BYTE_1// 000000006CAC: 7E6A1CF9 00011637
	v_cvt_off_f32_i4_sdwa v54, v55 dst_sel:DWORD dst_unused:UNUSED_PRESERVE src0_sel:BYTE_3// 000000006CB4: 7E6C1CF9 00031637
	v_cvt_pk_fp8_f32 v57, v53, v54 op_sel:[0,0,1]              // 000000006CBC: D2A24039 00026D35
	v_accvgpr_write_b32 a202, v56                              // 000000006CC4: D3D940CA 18000138
	v_accvgpr_write_b32 a203, v57                              // 000000006CCC: D3D940CB 18000139
	s_nop 3                                                    // 000000006CD4: BF800003
	v_mfma_f32_16x16x32_fp8_fp8 v[96:99], a[202:203], v[202:203], v[96:99]// 000000006CD8: D3F30060 0D8395CA
	v_accvgpr_read_b32 v52, a230                               // 000000006CE0: D3D84034 180001E6
	v_cvt_off_f32_i4_e32 v53, v52                              // 000000006CE8: 7E6A1D34
	v_cvt_off_f32_i4_sdwa v54, v52 dst_sel:DWORD dst_unused:UNUSED_PRESERVE src0_sel:BYTE_2// 000000006CEC: 7E6C1CF9 00021634
	v_cvt_pk_fp8_f32 v56, v53, v54                             // 000000006CF4: D2A20038 00026D35
	v_cvt_off_f32_i4_sdwa v53, v52 dst_sel:DWORD dst_unused:UNUSED_PRESERVE src0_sel:BYTE_1// 000000006CFC: 7E6A1CF9 00011634
	v_cvt_off_f32_i4_sdwa v54, v52 dst_sel:DWORD dst_unused:UNUSED_PRESERVE src0_sel:BYTE_3// 000000006D04: 7E6C1CF9 00031634
	v_cvt_pk_fp8_f32 v57, v53, v54                             // 000000006D0C: D2A20039 00026D35
	v_lshrrev_b32_e32 v55, 4, v52                              // 000000006D14: 206E6884
	v_cvt_off_f32_i4_e32 v53, v55                              // 000000006D18: 7E6A1D37
	v_cvt_off_f32_i4_sdwa v54, v55 dst_sel:DWORD dst_unused:UNUSED_PRESERVE src0_sel:BYTE_2// 000000006D1C: 7E6C1CF9 00021637
	v_cvt_pk_fp8_f32 v56, v53, v54 op_sel:[0,0,1]              // 000000006D24: D2A24038 00026D35
	v_cvt_off_f32_i4_sdwa v53, v55 dst_sel:DWORD dst_unused:UNUSED_PRESERVE src0_sel:BYTE_1// 000000006D2C: 7E6A1CF9 00011637
	v_cvt_off_f32_i4_sdwa v54, v55 dst_sel:DWORD dst_unused:UNUSED_PRESERVE src0_sel:BYTE_3// 000000006D34: 7E6C1CF9 00031637
	v_cvt_pk_fp8_f32 v57, v53, v54 op_sel:[0,0,1]              // 000000006D3C: D2A24039 00026D35
	v_accvgpr_write_b32 a204, v56                              // 000000006D44: D3D940CC 18000138
	v_accvgpr_write_b32 a205, v57                              // 000000006D4C: D3D940CD 18000139
	s_nop 3                                                    // 000000006D54: BF800003
	v_mfma_f32_16x16x32_fp8_fp8 v[96:99], a[204:205], v[204:205], v[96:99]// 000000006D58: D3F30060 0D8399CC
	v_accvgpr_read_b32 v52, a231                               // 000000006D60: D3D84034 180001E7
	v_cvt_off_f32_i4_e32 v53, v52                              // 000000006D68: 7E6A1D34
	v_cvt_off_f32_i4_sdwa v54, v52 dst_sel:DWORD dst_unused:UNUSED_PRESERVE src0_sel:BYTE_2// 000000006D6C: 7E6C1CF9 00021634
	v_cvt_pk_fp8_f32 v56, v53, v54                             // 000000006D74: D2A20038 00026D35
	v_cvt_off_f32_i4_sdwa v53, v52 dst_sel:DWORD dst_unused:UNUSED_PRESERVE src0_sel:BYTE_1// 000000006D7C: 7E6A1CF9 00011634
	v_cvt_off_f32_i4_sdwa v54, v52 dst_sel:DWORD dst_unused:UNUSED_PRESERVE src0_sel:BYTE_3// 000000006D84: 7E6C1CF9 00031634
	v_cvt_pk_fp8_f32 v57, v53, v54                             // 000000006D8C: D2A20039 00026D35
	v_lshrrev_b32_e32 v55, 4, v52                              // 000000006D94: 206E6884
	v_cvt_off_f32_i4_e32 v53, v55                              // 000000006D98: 7E6A1D37
	v_cvt_off_f32_i4_sdwa v54, v55 dst_sel:DWORD dst_unused:UNUSED_PRESERVE src0_sel:BYTE_2// 000000006D9C: 7E6C1CF9 00021637
	v_cvt_pk_fp8_f32 v56, v53, v54 op_sel:[0,0,1]              // 000000006DA4: D2A24038 00026D35
	v_cvt_off_f32_i4_sdwa v53, v55 dst_sel:DWORD dst_unused:UNUSED_PRESERVE src0_sel:BYTE_1// 000000006DAC: 7E6A1CF9 00011637
	v_cvt_off_f32_i4_sdwa v54, v55 dst_sel:DWORD dst_unused:UNUSED_PRESERVE src0_sel:BYTE_3// 000000006DB4: 7E6C1CF9 00031637
	v_cvt_pk_fp8_f32 v57, v53, v54 op_sel:[0,0,1]              // 000000006DBC: D2A24039 00026D35
	v_accvgpr_write_b32 a206, v56                              // 000000006DC4: D3D940CE 18000138
	v_accvgpr_write_b32 a207, v57                              // 000000006DCC: D3D940CF 18000139
	s_nop 3                                                    // 000000006DD4: BF800003
	v_mfma_f32_16x16x32_fp8_fp8 v[96:99], a[206:207], v[206:207], v[96:99]// 000000006DD8: D3F30060 0D839DCE
	v_mfma_f32_16x16x32_fp8_fp8 v[100:103], a[192:193], v[208:209], v[100:103]// 000000006DE0: D3F30064 0D93A1C0
	v_mfma_f32_16x16x32_fp8_fp8 v[100:103], a[194:195], v[210:211], v[100:103]// 000000006DE8: D3F30064 0D93A5C2
	buffer_load_dwordx4 a[100:103], v38, s[24:27], 0 offen offset:1024// 000000006DF0: E05C1400 80866426
	v_mfma_f32_16x16x32_fp8_fp8 v[100:103], a[196:197], v[212:213], v[100:103]// 000000006DF8: D3F30064 0D93A9C4
	v_mfma_f32_16x16x32_fp8_fp8 v[100:103], a[198:199], v[214:215], v[100:103]// 000000006E00: D3F30064 0D93ADC6
	v_mfma_f32_16x16x32_fp8_fp8 v[100:103], a[200:201], v[216:217], v[100:103]// 000000006E08: D3F30064 0D93B1C8
	v_mfma_f32_16x16x32_fp8_fp8 v[100:103], a[202:203], v[218:219], v[100:103]// 000000006E10: D3F30064 0D93B5CA
	v_mfma_f32_16x16x32_fp8_fp8 v[100:103], a[204:205], v[220:221], v[100:103]// 000000006E18: D3F30064 0D93B9CC
	v_mfma_f32_16x16x32_fp8_fp8 v[100:103], a[206:207], v[222:223], v[100:103]// 000000006E20: D3F30064 0D93BDCE
	s_waitcnt vmcnt(14)                                        // 000000006E28: BF8C0F7E
	v_accvgpr_read_b32 v52, a232                               // 000000006E2C: D3D84034 180001E8
	v_cvt_off_f32_i4_e32 v53, v52                              // 000000006E34: 7E6A1D34
	v_cvt_off_f32_i4_sdwa v54, v52 dst_sel:DWORD dst_unused:UNUSED_PRESERVE src0_sel:BYTE_2// 000000006E38: 7E6C1CF9 00021634
	v_cvt_pk_fp8_f32 v56, v53, v54                             // 000000006E40: D2A20038 00026D35
	v_cvt_off_f32_i4_sdwa v53, v52 dst_sel:DWORD dst_unused:UNUSED_PRESERVE src0_sel:BYTE_1// 000000006E48: 7E6A1CF9 00011634
	v_cvt_off_f32_i4_sdwa v54, v52 dst_sel:DWORD dst_unused:UNUSED_PRESERVE src0_sel:BYTE_3// 000000006E50: 7E6C1CF9 00031634
	v_cvt_pk_fp8_f32 v57, v53, v54                             // 000000006E58: D2A20039 00026D35
	v_lshrrev_b32_e32 v55, 4, v52                              // 000000006E60: 206E6884
	v_cvt_off_f32_i4_e32 v53, v55                              // 000000006E64: 7E6A1D37
	v_cvt_off_f32_i4_sdwa v54, v55 dst_sel:DWORD dst_unused:UNUSED_PRESERVE src0_sel:BYTE_2// 000000006E68: 7E6C1CF9 00021637
	v_cvt_pk_fp8_f32 v56, v53, v54 op_sel:[0,0,1]              // 000000006E70: D2A24038 00026D35
	v_cvt_off_f32_i4_sdwa v53, v55 dst_sel:DWORD dst_unused:UNUSED_PRESERVE src0_sel:BYTE_1// 000000006E78: 7E6A1CF9 00011637
	v_cvt_off_f32_i4_sdwa v54, v55 dst_sel:DWORD dst_unused:UNUSED_PRESERVE src0_sel:BYTE_3// 000000006E80: 7E6C1CF9 00031637
	v_cvt_pk_fp8_f32 v57, v53, v54 op_sel:[0,0,1]              // 000000006E88: D2A24039 00026D35
	v_accvgpr_write_b32 a208, v56                              // 000000006E90: D3D940D0 18000138
	v_accvgpr_write_b32 a209, v57                              // 000000006E98: D3D940D1 18000139
	s_nop 3                                                    // 000000006EA0: BF800003
	v_mfma_f32_16x16x32_fp8_fp8 v[104:107], a[208:209], v[192:193], v[104:107]// 000000006EA4: D3F30068 0DA381D0
	v_accvgpr_read_b32 v52, a233                               // 000000006EAC: D3D84034 180001E9
	v_cvt_off_f32_i4_e32 v53, v52                              // 000000006EB4: 7E6A1D34
	v_cvt_off_f32_i4_sdwa v54, v52 dst_sel:DWORD dst_unused:UNUSED_PRESERVE src0_sel:BYTE_2// 000000006EB8: 7E6C1CF9 00021634
	v_cvt_pk_fp8_f32 v56, v53, v54                             // 000000006EC0: D2A20038 00026D35
	v_cvt_off_f32_i4_sdwa v53, v52 dst_sel:DWORD dst_unused:UNUSED_PRESERVE src0_sel:BYTE_1// 000000006EC8: 7E6A1CF9 00011634
	v_cvt_off_f32_i4_sdwa v54, v52 dst_sel:DWORD dst_unused:UNUSED_PRESERVE src0_sel:BYTE_3// 000000006ED0: 7E6C1CF9 00031634
	v_cvt_pk_fp8_f32 v57, v53, v54                             // 000000006ED8: D2A20039 00026D35
	v_lshrrev_b32_e32 v55, 4, v52                              // 000000006EE0: 206E6884
	v_cvt_off_f32_i4_e32 v53, v55                              // 000000006EE4: 7E6A1D37
	v_cvt_off_f32_i4_sdwa v54, v55 dst_sel:DWORD dst_unused:UNUSED_PRESERVE src0_sel:BYTE_2// 000000006EE8: 7E6C1CF9 00021637
	v_cvt_pk_fp8_f32 v56, v53, v54 op_sel:[0,0,1]              // 000000006EF0: D2A24038 00026D35
	v_cvt_off_f32_i4_sdwa v53, v55 dst_sel:DWORD dst_unused:UNUSED_PRESERVE src0_sel:BYTE_1// 000000006EF8: 7E6A1CF9 00011637
	v_cvt_off_f32_i4_sdwa v54, v55 dst_sel:DWORD dst_unused:UNUSED_PRESERVE src0_sel:BYTE_3// 000000006F00: 7E6C1CF9 00031637
	v_cvt_pk_fp8_f32 v57, v53, v54 op_sel:[0,0,1]              // 000000006F08: D2A24039 00026D35
	v_accvgpr_write_b32 a210, v56                              // 000000006F10: D3D940D2 18000138
	v_accvgpr_write_b32 a211, v57                              // 000000006F18: D3D940D3 18000139
	s_nop 3                                                    // 000000006F20: BF800003
	v_mfma_f32_16x16x32_fp8_fp8 v[104:107], a[210:211], v[194:195], v[104:107]// 000000006F24: D3F30068 0DA385D2
	buffer_load_dwordx4 a[104:107], v39, s[24:27], 0 offen     // 000000006F2C: E05C1000 80866827
	v_accvgpr_read_b32 v52, a234                               // 000000006F34: D3D84034 180001EA
	v_cvt_off_f32_i4_e32 v53, v52                              // 000000006F3C: 7E6A1D34
	v_cvt_off_f32_i4_sdwa v54, v52 dst_sel:DWORD dst_unused:UNUSED_PRESERVE src0_sel:BYTE_2// 000000006F40: 7E6C1CF9 00021634
	v_cvt_pk_fp8_f32 v56, v53, v54                             // 000000006F48: D2A20038 00026D35
	v_cvt_off_f32_i4_sdwa v53, v52 dst_sel:DWORD dst_unused:UNUSED_PRESERVE src0_sel:BYTE_1// 000000006F50: 7E6A1CF9 00011634
	v_cvt_off_f32_i4_sdwa v54, v52 dst_sel:DWORD dst_unused:UNUSED_PRESERVE src0_sel:BYTE_3// 000000006F58: 7E6C1CF9 00031634
	v_cvt_pk_fp8_f32 v57, v53, v54                             // 000000006F60: D2A20039 00026D35
	v_lshrrev_b32_e32 v55, 4, v52                              // 000000006F68: 206E6884
	v_cvt_off_f32_i4_e32 v53, v55                              // 000000006F6C: 7E6A1D37
	v_cvt_off_f32_i4_sdwa v54, v55 dst_sel:DWORD dst_unused:UNUSED_PRESERVE src0_sel:BYTE_2// 000000006F70: 7E6C1CF9 00021637
	v_cvt_pk_fp8_f32 v56, v53, v54 op_sel:[0,0,1]              // 000000006F78: D2A24038 00026D35
	v_cvt_off_f32_i4_sdwa v53, v55 dst_sel:DWORD dst_unused:UNUSED_PRESERVE src0_sel:BYTE_1// 000000006F80: 7E6A1CF9 00011637
	v_cvt_off_f32_i4_sdwa v54, v55 dst_sel:DWORD dst_unused:UNUSED_PRESERVE src0_sel:BYTE_3// 000000006F88: 7E6C1CF9 00031637
	v_cvt_pk_fp8_f32 v57, v53, v54 op_sel:[0,0,1]              // 000000006F90: D2A24039 00026D35
	v_accvgpr_write_b32 a212, v56                              // 000000006F98: D3D940D4 18000138
	v_accvgpr_write_b32 a213, v57                              // 000000006FA0: D3D940D5 18000139
	s_nop 3                                                    // 000000006FA8: BF800003
	v_mfma_f32_16x16x32_fp8_fp8 v[104:107], a[212:213], v[196:197], v[104:107]// 000000006FAC: D3F30068 0DA389D4
	v_accvgpr_read_b32 v52, a235                               // 000000006FB4: D3D84034 180001EB
	v_cvt_off_f32_i4_e32 v53, v52                              // 000000006FBC: 7E6A1D34
	v_cvt_off_f32_i4_sdwa v54, v52 dst_sel:DWORD dst_unused:UNUSED_PRESERVE src0_sel:BYTE_2// 000000006FC0: 7E6C1CF9 00021634
	v_cvt_pk_fp8_f32 v56, v53, v54                             // 000000006FC8: D2A20038 00026D35
	v_cvt_off_f32_i4_sdwa v53, v52 dst_sel:DWORD dst_unused:UNUSED_PRESERVE src0_sel:BYTE_1// 000000006FD0: 7E6A1CF9 00011634
	v_cvt_off_f32_i4_sdwa v54, v52 dst_sel:DWORD dst_unused:UNUSED_PRESERVE src0_sel:BYTE_3// 000000006FD8: 7E6C1CF9 00031634
	v_cvt_pk_fp8_f32 v57, v53, v54                             // 000000006FE0: D2A20039 00026D35
	v_lshrrev_b32_e32 v55, 4, v52                              // 000000006FE8: 206E6884
	v_cvt_off_f32_i4_e32 v53, v55                              // 000000006FEC: 7E6A1D37
	v_cvt_off_f32_i4_sdwa v54, v55 dst_sel:DWORD dst_unused:UNUSED_PRESERVE src0_sel:BYTE_2// 000000006FF0: 7E6C1CF9 00021637
	v_cvt_pk_fp8_f32 v56, v53, v54 op_sel:[0,0,1]              // 000000006FF8: D2A24038 00026D35
	v_cvt_off_f32_i4_sdwa v53, v55 dst_sel:DWORD dst_unused:UNUSED_PRESERVE src0_sel:BYTE_1// 000000007000: 7E6A1CF9 00011637
	v_cvt_off_f32_i4_sdwa v54, v55 dst_sel:DWORD dst_unused:UNUSED_PRESERVE src0_sel:BYTE_3// 000000007008: 7E6C1CF9 00031637
	v_cvt_pk_fp8_f32 v57, v53, v54 op_sel:[0,0,1]              // 000000007010: D2A24039 00026D35
	v_accvgpr_write_b32 a214, v56                              // 000000007018: D3D940D6 18000138
	v_accvgpr_write_b32 a215, v57                              // 000000007020: D3D940D7 18000139
	s_nop 3                                                    // 000000007028: BF800003
	v_mfma_f32_16x16x32_fp8_fp8 v[104:107], a[214:215], v[198:199], v[104:107]// 00000000702C: D3F30068 0DA38DD6
	v_accvgpr_read_b32 v52, a236                               // 000000007034: D3D84034 180001EC
	v_cvt_off_f32_i4_e32 v53, v52                              // 00000000703C: 7E6A1D34
	v_cvt_off_f32_i4_sdwa v54, v52 dst_sel:DWORD dst_unused:UNUSED_PRESERVE src0_sel:BYTE_2// 000000007040: 7E6C1CF9 00021634
	v_cvt_pk_fp8_f32 v56, v53, v54                             // 000000007048: D2A20038 00026D35
	v_cvt_off_f32_i4_sdwa v53, v52 dst_sel:DWORD dst_unused:UNUSED_PRESERVE src0_sel:BYTE_1// 000000007050: 7E6A1CF9 00011634
	v_cvt_off_f32_i4_sdwa v54, v52 dst_sel:DWORD dst_unused:UNUSED_PRESERVE src0_sel:BYTE_3// 000000007058: 7E6C1CF9 00031634
	v_cvt_pk_fp8_f32 v57, v53, v54                             // 000000007060: D2A20039 00026D35
	v_lshrrev_b32_e32 v55, 4, v52                              // 000000007068: 206E6884
	v_cvt_off_f32_i4_e32 v53, v55                              // 00000000706C: 7E6A1D37
	v_cvt_off_f32_i4_sdwa v54, v55 dst_sel:DWORD dst_unused:UNUSED_PRESERVE src0_sel:BYTE_2// 000000007070: 7E6C1CF9 00021637
	v_cvt_pk_fp8_f32 v56, v53, v54 op_sel:[0,0,1]              // 000000007078: D2A24038 00026D35
	v_cvt_off_f32_i4_sdwa v53, v55 dst_sel:DWORD dst_unused:UNUSED_PRESERVE src0_sel:BYTE_1// 000000007080: 7E6A1CF9 00011637
	v_cvt_off_f32_i4_sdwa v54, v55 dst_sel:DWORD dst_unused:UNUSED_PRESERVE src0_sel:BYTE_3// 000000007088: 7E6C1CF9 00031637
	v_cvt_pk_fp8_f32 v57, v53, v54 op_sel:[0,0,1]              // 000000007090: D2A24039 00026D35
	v_accvgpr_write_b32 a216, v56                              // 000000007098: D3D940D8 18000138
	v_accvgpr_write_b32 a217, v57                              // 0000000070A0: D3D940D9 18000139
	s_nop 3                                                    // 0000000070A8: BF800003
	v_mfma_f32_16x16x32_fp8_fp8 v[104:107], a[216:217], v[200:201], v[104:107]// 0000000070AC: D3F30068 0DA391D8
	v_accvgpr_read_b32 v52, a237                               // 0000000070B4: D3D84034 180001ED
	v_cvt_off_f32_i4_e32 v53, v52                              // 0000000070BC: 7E6A1D34
	v_cvt_off_f32_i4_sdwa v54, v52 dst_sel:DWORD dst_unused:UNUSED_PRESERVE src0_sel:BYTE_2// 0000000070C0: 7E6C1CF9 00021634
	v_cvt_pk_fp8_f32 v56, v53, v54                             // 0000000070C8: D2A20038 00026D35
	v_cvt_off_f32_i4_sdwa v53, v52 dst_sel:DWORD dst_unused:UNUSED_PRESERVE src0_sel:BYTE_1// 0000000070D0: 7E6A1CF9 00011634
	v_cvt_off_f32_i4_sdwa v54, v52 dst_sel:DWORD dst_unused:UNUSED_PRESERVE src0_sel:BYTE_3// 0000000070D8: 7E6C1CF9 00031634
	v_cvt_pk_fp8_f32 v57, v53, v54                             // 0000000070E0: D2A20039 00026D35
	v_lshrrev_b32_e32 v55, 4, v52                              // 0000000070E8: 206E6884
	v_cvt_off_f32_i4_e32 v53, v55                              // 0000000070EC: 7E6A1D37
	v_cvt_off_f32_i4_sdwa v54, v55 dst_sel:DWORD dst_unused:UNUSED_PRESERVE src0_sel:BYTE_2// 0000000070F0: 7E6C1CF9 00021637
	v_cvt_pk_fp8_f32 v56, v53, v54 op_sel:[0,0,1]              // 0000000070F8: D2A24038 00026D35
	v_cvt_off_f32_i4_sdwa v53, v55 dst_sel:DWORD dst_unused:UNUSED_PRESERVE src0_sel:BYTE_1// 000000007100: 7E6A1CF9 00011637
	v_cvt_off_f32_i4_sdwa v54, v55 dst_sel:DWORD dst_unused:UNUSED_PRESERVE src0_sel:BYTE_3// 000000007108: 7E6C1CF9 00031637
	v_cvt_pk_fp8_f32 v57, v53, v54 op_sel:[0,0,1]              // 000000007110: D2A24039 00026D35
	v_accvgpr_write_b32 a218, v56                              // 000000007118: D3D940DA 18000138
	v_accvgpr_write_b32 a219, v57                              // 000000007120: D3D940DB 18000139
	s_nop 3                                                    // 000000007128: BF800003
	v_mfma_f32_16x16x32_fp8_fp8 v[104:107], a[218:219], v[202:203], v[104:107]// 00000000712C: D3F30068 0DA395DA
	v_accvgpr_read_b32 v52, a238                               // 000000007134: D3D84034 180001EE
	v_cvt_off_f32_i4_e32 v53, v52                              // 00000000713C: 7E6A1D34
	v_cvt_off_f32_i4_sdwa v54, v52 dst_sel:DWORD dst_unused:UNUSED_PRESERVE src0_sel:BYTE_2// 000000007140: 7E6C1CF9 00021634
	v_cvt_pk_fp8_f32 v56, v53, v54                             // 000000007148: D2A20038 00026D35
	v_cvt_off_f32_i4_sdwa v53, v52 dst_sel:DWORD dst_unused:UNUSED_PRESERVE src0_sel:BYTE_1// 000000007150: 7E6A1CF9 00011634
	v_cvt_off_f32_i4_sdwa v54, v52 dst_sel:DWORD dst_unused:UNUSED_PRESERVE src0_sel:BYTE_3// 000000007158: 7E6C1CF9 00031634
	v_cvt_pk_fp8_f32 v57, v53, v54                             // 000000007160: D2A20039 00026D35
	v_lshrrev_b32_e32 v55, 4, v52                              // 000000007168: 206E6884
	v_cvt_off_f32_i4_e32 v53, v55                              // 00000000716C: 7E6A1D37
	v_cvt_off_f32_i4_sdwa v54, v55 dst_sel:DWORD dst_unused:UNUSED_PRESERVE src0_sel:BYTE_2// 000000007170: 7E6C1CF9 00021637
	v_cvt_pk_fp8_f32 v56, v53, v54 op_sel:[0,0,1]              // 000000007178: D2A24038 00026D35
	v_cvt_off_f32_i4_sdwa v53, v55 dst_sel:DWORD dst_unused:UNUSED_PRESERVE src0_sel:BYTE_1// 000000007180: 7E6A1CF9 00011637
	v_cvt_off_f32_i4_sdwa v54, v55 dst_sel:DWORD dst_unused:UNUSED_PRESERVE src0_sel:BYTE_3// 000000007188: 7E6C1CF9 00031637
	v_cvt_pk_fp8_f32 v57, v53, v54 op_sel:[0,0,1]              // 000000007190: D2A24039 00026D35
	v_accvgpr_write_b32 a220, v56                              // 000000007198: D3D940DC 18000138
	v_accvgpr_write_b32 a221, v57                              // 0000000071A0: D3D940DD 18000139
	s_nop 3                                                    // 0000000071A8: BF800003
	v_mfma_f32_16x16x32_fp8_fp8 v[104:107], a[220:221], v[204:205], v[104:107]// 0000000071AC: D3F30068 0DA399DC
	v_accvgpr_read_b32 v52, a239                               // 0000000071B4: D3D84034 180001EF
	v_cvt_off_f32_i4_e32 v53, v52                              // 0000000071BC: 7E6A1D34
	v_cvt_off_f32_i4_sdwa v54, v52 dst_sel:DWORD dst_unused:UNUSED_PRESERVE src0_sel:BYTE_2// 0000000071C0: 7E6C1CF9 00021634
	v_cvt_pk_fp8_f32 v56, v53, v54                             // 0000000071C8: D2A20038 00026D35
	v_cvt_off_f32_i4_sdwa v53, v52 dst_sel:DWORD dst_unused:UNUSED_PRESERVE src0_sel:BYTE_1// 0000000071D0: 7E6A1CF9 00011634
	v_cvt_off_f32_i4_sdwa v54, v52 dst_sel:DWORD dst_unused:UNUSED_PRESERVE src0_sel:BYTE_3// 0000000071D8: 7E6C1CF9 00031634
	v_cvt_pk_fp8_f32 v57, v53, v54                             // 0000000071E0: D2A20039 00026D35
	v_lshrrev_b32_e32 v55, 4, v52                              // 0000000071E8: 206E6884
	v_cvt_off_f32_i4_e32 v53, v55                              // 0000000071EC: 7E6A1D37
	v_cvt_off_f32_i4_sdwa v54, v55 dst_sel:DWORD dst_unused:UNUSED_PRESERVE src0_sel:BYTE_2// 0000000071F0: 7E6C1CF9 00021637
	v_cvt_pk_fp8_f32 v56, v53, v54 op_sel:[0,0,1]              // 0000000071F8: D2A24038 00026D35
	v_cvt_off_f32_i4_sdwa v53, v55 dst_sel:DWORD dst_unused:UNUSED_PRESERVE src0_sel:BYTE_1// 000000007200: 7E6A1CF9 00011637
	v_cvt_off_f32_i4_sdwa v54, v55 dst_sel:DWORD dst_unused:UNUSED_PRESERVE src0_sel:BYTE_3// 000000007208: 7E6C1CF9 00031637
	v_cvt_pk_fp8_f32 v57, v53, v54 op_sel:[0,0,1]              // 000000007210: D2A24039 00026D35
	v_accvgpr_write_b32 a222, v56                              // 000000007218: D3D940DE 18000138
	v_accvgpr_write_b32 a223, v57                              // 000000007220: D3D940DF 18000139
	s_nop 3                                                    // 000000007228: BF800003
	v_mfma_f32_16x16x32_fp8_fp8 v[104:107], a[222:223], v[206:207], v[104:107]// 00000000722C: D3F30068 0DA39DDE
	v_mfma_f32_16x16x32_fp8_fp8 v[108:111], a[208:209], v[208:209], v[108:111]// 000000007234: D3F3006C 0DB3A1D0
	v_mfma_f32_16x16x32_fp8_fp8 v[108:111], a[210:211], v[210:211], v[108:111]// 00000000723C: D3F3006C 0DB3A5D2
	buffer_load_dwordx4 a[108:111], v39, s[24:27], 0 offen offset:1024// 000000007244: E05C1400 80866C27
	v_mfma_f32_16x16x32_fp8_fp8 v[108:111], a[212:213], v[212:213], v[108:111]// 00000000724C: D3F3006C 0DB3A9D4
	v_mfma_f32_16x16x32_fp8_fp8 v[108:111], a[214:215], v[214:215], v[108:111]// 000000007254: D3F3006C 0DB3ADD6
	v_mfma_f32_16x16x32_fp8_fp8 v[108:111], a[216:217], v[216:217], v[108:111]// 00000000725C: D3F3006C 0DB3B1D8
	v_mfma_f32_16x16x32_fp8_fp8 v[108:111], a[218:219], v[218:219], v[108:111]// 000000007264: D3F3006C 0DB3B5DA
	v_mfma_f32_16x16x32_fp8_fp8 v[108:111], a[220:221], v[220:221], v[108:111]// 00000000726C: D3F3006C 0DB3B9DC
	v_mfma_f32_16x16x32_fp8_fp8 v[108:111], a[222:223], v[222:223], v[108:111]// 000000007274: D3F3006C 0DB3BDDE
	s_waitcnt vmcnt(14)                                        // 00000000727C: BF8C0F7E
	v_accvgpr_read_b32 v52, a240                               // 000000007280: D3D84034 180001F0
	v_cvt_off_f32_i4_e32 v53, v52                              // 000000007288: 7E6A1D34
	v_cvt_off_f32_i4_sdwa v54, v52 dst_sel:DWORD dst_unused:UNUSED_PRESERVE src0_sel:BYTE_2// 00000000728C: 7E6C1CF9 00021634
	v_cvt_pk_fp8_f32 v56, v53, v54                             // 000000007294: D2A20038 00026D35
	v_cvt_off_f32_i4_sdwa v53, v52 dst_sel:DWORD dst_unused:UNUSED_PRESERVE src0_sel:BYTE_1// 00000000729C: 7E6A1CF9 00011634
	v_cvt_off_f32_i4_sdwa v54, v52 dst_sel:DWORD dst_unused:UNUSED_PRESERVE src0_sel:BYTE_3// 0000000072A4: 7E6C1CF9 00031634
	v_cvt_pk_fp8_f32 v57, v53, v54                             // 0000000072AC: D2A20039 00026D35
	v_lshrrev_b32_e32 v55, 4, v52                              // 0000000072B4: 206E6884
	v_cvt_off_f32_i4_e32 v53, v55                              // 0000000072B8: 7E6A1D37
	v_cvt_off_f32_i4_sdwa v54, v55 dst_sel:DWORD dst_unused:UNUSED_PRESERVE src0_sel:BYTE_2// 0000000072BC: 7E6C1CF9 00021637
	v_cvt_pk_fp8_f32 v56, v53, v54 op_sel:[0,0,1]              // 0000000072C4: D2A24038 00026D35
	v_cvt_off_f32_i4_sdwa v53, v55 dst_sel:DWORD dst_unused:UNUSED_PRESERVE src0_sel:BYTE_1// 0000000072CC: 7E6A1CF9 00011637
	v_cvt_off_f32_i4_sdwa v54, v55 dst_sel:DWORD dst_unused:UNUSED_PRESERVE src0_sel:BYTE_3// 0000000072D4: 7E6C1CF9 00031637
	v_cvt_pk_fp8_f32 v57, v53, v54 op_sel:[0,0,1]              // 0000000072DC: D2A24039 00026D35
	v_accvgpr_write_b32 a224, v56                              // 0000000072E4: D3D940E0 18000138
	v_accvgpr_write_b32 a225, v57                              // 0000000072EC: D3D940E1 18000139
	s_nop 3                                                    // 0000000072F4: BF800003
	v_mfma_f32_16x16x32_fp8_fp8 v[112:115], a[224:225], v[192:193], v[112:115]// 0000000072F8: D3F30070 0DC381E0
	v_accvgpr_read_b32 v52, a241                               // 000000007300: D3D84034 180001F1
	v_cvt_off_f32_i4_e32 v53, v52                              // 000000007308: 7E6A1D34
	v_cvt_off_f32_i4_sdwa v54, v52 dst_sel:DWORD dst_unused:UNUSED_PRESERVE src0_sel:BYTE_2// 00000000730C: 7E6C1CF9 00021634
	v_cvt_pk_fp8_f32 v56, v53, v54                             // 000000007314: D2A20038 00026D35
	v_cvt_off_f32_i4_sdwa v53, v52 dst_sel:DWORD dst_unused:UNUSED_PRESERVE src0_sel:BYTE_1// 00000000731C: 7E6A1CF9 00011634
	v_cvt_off_f32_i4_sdwa v54, v52 dst_sel:DWORD dst_unused:UNUSED_PRESERVE src0_sel:BYTE_3// 000000007324: 7E6C1CF9 00031634
	v_cvt_pk_fp8_f32 v57, v53, v54                             // 00000000732C: D2A20039 00026D35
	v_lshrrev_b32_e32 v55, 4, v52                              // 000000007334: 206E6884
	v_cvt_off_f32_i4_e32 v53, v55                              // 000000007338: 7E6A1D37
	v_cvt_off_f32_i4_sdwa v54, v55 dst_sel:DWORD dst_unused:UNUSED_PRESERVE src0_sel:BYTE_2// 00000000733C: 7E6C1CF9 00021637
	v_cvt_pk_fp8_f32 v56, v53, v54 op_sel:[0,0,1]              // 000000007344: D2A24038 00026D35
	v_cvt_off_f32_i4_sdwa v53, v55 dst_sel:DWORD dst_unused:UNUSED_PRESERVE src0_sel:BYTE_1// 00000000734C: 7E6A1CF9 00011637
	v_cvt_off_f32_i4_sdwa v54, v55 dst_sel:DWORD dst_unused:UNUSED_PRESERVE src0_sel:BYTE_3// 000000007354: 7E6C1CF9 00031637
	v_cvt_pk_fp8_f32 v57, v53, v54 op_sel:[0,0,1]              // 00000000735C: D2A24039 00026D35
	v_accvgpr_write_b32 a226, v56                              // 000000007364: D3D940E2 18000138
	v_accvgpr_write_b32 a227, v57                              // 00000000736C: D3D940E3 18000139
	s_nop 3                                                    // 000000007374: BF800003
	v_mfma_f32_16x16x32_fp8_fp8 v[112:115], a[226:227], v[194:195], v[112:115]// 000000007378: D3F30070 0DC385E2
	buffer_load_dwordx4 a[112:115], v40, s[24:27], 0 offen     // 000000007380: E05C1000 80867028
	v_accvgpr_read_b32 v52, a242                               // 000000007388: D3D84034 180001F2
	v_cvt_off_f32_i4_e32 v53, v52                              // 000000007390: 7E6A1D34
	v_cvt_off_f32_i4_sdwa v54, v52 dst_sel:DWORD dst_unused:UNUSED_PRESERVE src0_sel:BYTE_2// 000000007394: 7E6C1CF9 00021634
	v_cvt_pk_fp8_f32 v56, v53, v54                             // 00000000739C: D2A20038 00026D35
	v_cvt_off_f32_i4_sdwa v53, v52 dst_sel:DWORD dst_unused:UNUSED_PRESERVE src0_sel:BYTE_1// 0000000073A4: 7E6A1CF9 00011634
	v_cvt_off_f32_i4_sdwa v54, v52 dst_sel:DWORD dst_unused:UNUSED_PRESERVE src0_sel:BYTE_3// 0000000073AC: 7E6C1CF9 00031634
	v_cvt_pk_fp8_f32 v57, v53, v54                             // 0000000073B4: D2A20039 00026D35
	v_lshrrev_b32_e32 v55, 4, v52                              // 0000000073BC: 206E6884
	v_cvt_off_f32_i4_e32 v53, v55                              // 0000000073C0: 7E6A1D37
	v_cvt_off_f32_i4_sdwa v54, v55 dst_sel:DWORD dst_unused:UNUSED_PRESERVE src0_sel:BYTE_2// 0000000073C4: 7E6C1CF9 00021637
	v_cvt_pk_fp8_f32 v56, v53, v54 op_sel:[0,0,1]              // 0000000073CC: D2A24038 00026D35
	v_cvt_off_f32_i4_sdwa v53, v55 dst_sel:DWORD dst_unused:UNUSED_PRESERVE src0_sel:BYTE_1// 0000000073D4: 7E6A1CF9 00011637
	v_cvt_off_f32_i4_sdwa v54, v55 dst_sel:DWORD dst_unused:UNUSED_PRESERVE src0_sel:BYTE_3// 0000000073DC: 7E6C1CF9 00031637
	v_cvt_pk_fp8_f32 v57, v53, v54 op_sel:[0,0,1]              // 0000000073E4: D2A24039 00026D35
	v_accvgpr_write_b32 a228, v56                              // 0000000073EC: D3D940E4 18000138
	v_accvgpr_write_b32 a229, v57                              // 0000000073F4: D3D940E5 18000139
	s_nop 3                                                    // 0000000073FC: BF800003
	v_mfma_f32_16x16x32_fp8_fp8 v[112:115], a[228:229], v[196:197], v[112:115]// 000000007400: D3F30070 0DC389E4
	v_accvgpr_read_b32 v52, a243                               // 000000007408: D3D84034 180001F3
	v_cvt_off_f32_i4_e32 v53, v52                              // 000000007410: 7E6A1D34
	v_cvt_off_f32_i4_sdwa v54, v52 dst_sel:DWORD dst_unused:UNUSED_PRESERVE src0_sel:BYTE_2// 000000007414: 7E6C1CF9 00021634
	v_cvt_pk_fp8_f32 v56, v53, v54                             // 00000000741C: D2A20038 00026D35
	v_cvt_off_f32_i4_sdwa v53, v52 dst_sel:DWORD dst_unused:UNUSED_PRESERVE src0_sel:BYTE_1// 000000007424: 7E6A1CF9 00011634
	v_cvt_off_f32_i4_sdwa v54, v52 dst_sel:DWORD dst_unused:UNUSED_PRESERVE src0_sel:BYTE_3// 00000000742C: 7E6C1CF9 00031634
	v_cvt_pk_fp8_f32 v57, v53, v54                             // 000000007434: D2A20039 00026D35
	v_lshrrev_b32_e32 v55, 4, v52                              // 00000000743C: 206E6884
	v_cvt_off_f32_i4_e32 v53, v55                              // 000000007440: 7E6A1D37
	v_cvt_off_f32_i4_sdwa v54, v55 dst_sel:DWORD dst_unused:UNUSED_PRESERVE src0_sel:BYTE_2// 000000007444: 7E6C1CF9 00021637
	v_cvt_pk_fp8_f32 v56, v53, v54 op_sel:[0,0,1]              // 00000000744C: D2A24038 00026D35
	v_cvt_off_f32_i4_sdwa v53, v55 dst_sel:DWORD dst_unused:UNUSED_PRESERVE src0_sel:BYTE_1// 000000007454: 7E6A1CF9 00011637
	v_cvt_off_f32_i4_sdwa v54, v55 dst_sel:DWORD dst_unused:UNUSED_PRESERVE src0_sel:BYTE_3// 00000000745C: 7E6C1CF9 00031637
	v_cvt_pk_fp8_f32 v57, v53, v54 op_sel:[0,0,1]              // 000000007464: D2A24039 00026D35
	v_accvgpr_write_b32 a230, v56                              // 00000000746C: D3D940E6 18000138
	v_accvgpr_write_b32 a231, v57                              // 000000007474: D3D940E7 18000139
	s_nop 3                                                    // 00000000747C: BF800003
	v_mfma_f32_16x16x32_fp8_fp8 v[112:115], a[230:231], v[198:199], v[112:115]// 000000007480: D3F30070 0DC38DE6
	v_accvgpr_read_b32 v52, a244                               // 000000007488: D3D84034 180001F4
	v_cvt_off_f32_i4_e32 v53, v52                              // 000000007490: 7E6A1D34
	v_cvt_off_f32_i4_sdwa v54, v52 dst_sel:DWORD dst_unused:UNUSED_PRESERVE src0_sel:BYTE_2// 000000007494: 7E6C1CF9 00021634
	v_cvt_pk_fp8_f32 v56, v53, v54                             // 00000000749C: D2A20038 00026D35
	v_cvt_off_f32_i4_sdwa v53, v52 dst_sel:DWORD dst_unused:UNUSED_PRESERVE src0_sel:BYTE_1// 0000000074A4: 7E6A1CF9 00011634
	v_cvt_off_f32_i4_sdwa v54, v52 dst_sel:DWORD dst_unused:UNUSED_PRESERVE src0_sel:BYTE_3// 0000000074AC: 7E6C1CF9 00031634
	v_cvt_pk_fp8_f32 v57, v53, v54                             // 0000000074B4: D2A20039 00026D35
	v_lshrrev_b32_e32 v55, 4, v52                              // 0000000074BC: 206E6884
	v_cvt_off_f32_i4_e32 v53, v55                              // 0000000074C0: 7E6A1D37
	v_cvt_off_f32_i4_sdwa v54, v55 dst_sel:DWORD dst_unused:UNUSED_PRESERVE src0_sel:BYTE_2// 0000000074C4: 7E6C1CF9 00021637
	v_cvt_pk_fp8_f32 v56, v53, v54 op_sel:[0,0,1]              // 0000000074CC: D2A24038 00026D35
	v_cvt_off_f32_i4_sdwa v53, v55 dst_sel:DWORD dst_unused:UNUSED_PRESERVE src0_sel:BYTE_1// 0000000074D4: 7E6A1CF9 00011637
	v_cvt_off_f32_i4_sdwa v54, v55 dst_sel:DWORD dst_unused:UNUSED_PRESERVE src0_sel:BYTE_3// 0000000074DC: 7E6C1CF9 00031637
	v_cvt_pk_fp8_f32 v57, v53, v54 op_sel:[0,0,1]              // 0000000074E4: D2A24039 00026D35
	v_accvgpr_write_b32 a232, v56                              // 0000000074EC: D3D940E8 18000138
	v_accvgpr_write_b32 a233, v57                              // 0000000074F4: D3D940E9 18000139
	s_nop 3                                                    // 0000000074FC: BF800003
	v_mfma_f32_16x16x32_fp8_fp8 v[112:115], a[232:233], v[200:201], v[112:115]// 000000007500: D3F30070 0DC391E8
	v_accvgpr_read_b32 v52, a245                               // 000000007508: D3D84034 180001F5
	v_cvt_off_f32_i4_e32 v53, v52                              // 000000007510: 7E6A1D34
	v_cvt_off_f32_i4_sdwa v54, v52 dst_sel:DWORD dst_unused:UNUSED_PRESERVE src0_sel:BYTE_2// 000000007514: 7E6C1CF9 00021634
	v_cvt_pk_fp8_f32 v56, v53, v54                             // 00000000751C: D2A20038 00026D35
	v_cvt_off_f32_i4_sdwa v53, v52 dst_sel:DWORD dst_unused:UNUSED_PRESERVE src0_sel:BYTE_1// 000000007524: 7E6A1CF9 00011634
	v_cvt_off_f32_i4_sdwa v54, v52 dst_sel:DWORD dst_unused:UNUSED_PRESERVE src0_sel:BYTE_3// 00000000752C: 7E6C1CF9 00031634
	v_cvt_pk_fp8_f32 v57, v53, v54                             // 000000007534: D2A20039 00026D35
	v_lshrrev_b32_e32 v55, 4, v52                              // 00000000753C: 206E6884
	v_cvt_off_f32_i4_e32 v53, v55                              // 000000007540: 7E6A1D37
	v_cvt_off_f32_i4_sdwa v54, v55 dst_sel:DWORD dst_unused:UNUSED_PRESERVE src0_sel:BYTE_2// 000000007544: 7E6C1CF9 00021637
	v_cvt_pk_fp8_f32 v56, v53, v54 op_sel:[0,0,1]              // 00000000754C: D2A24038 00026D35
	v_cvt_off_f32_i4_sdwa v53, v55 dst_sel:DWORD dst_unused:UNUSED_PRESERVE src0_sel:BYTE_1// 000000007554: 7E6A1CF9 00011637
	v_cvt_off_f32_i4_sdwa v54, v55 dst_sel:DWORD dst_unused:UNUSED_PRESERVE src0_sel:BYTE_3// 00000000755C: 7E6C1CF9 00031637
	v_cvt_pk_fp8_f32 v57, v53, v54 op_sel:[0,0,1]              // 000000007564: D2A24039 00026D35
	v_accvgpr_write_b32 a234, v56                              // 00000000756C: D3D940EA 18000138
	v_accvgpr_write_b32 a235, v57                              // 000000007574: D3D940EB 18000139
	s_nop 3                                                    // 00000000757C: BF800003
	v_mfma_f32_16x16x32_fp8_fp8 v[112:115], a[234:235], v[202:203], v[112:115]// 000000007580: D3F30070 0DC395EA
	v_accvgpr_read_b32 v52, a246                               // 000000007588: D3D84034 180001F6
	v_cvt_off_f32_i4_e32 v53, v52                              // 000000007590: 7E6A1D34
	v_cvt_off_f32_i4_sdwa v54, v52 dst_sel:DWORD dst_unused:UNUSED_PRESERVE src0_sel:BYTE_2// 000000007594: 7E6C1CF9 00021634
	v_cvt_pk_fp8_f32 v56, v53, v54                             // 00000000759C: D2A20038 00026D35
	v_cvt_off_f32_i4_sdwa v53, v52 dst_sel:DWORD dst_unused:UNUSED_PRESERVE src0_sel:BYTE_1// 0000000075A4: 7E6A1CF9 00011634
	v_cvt_off_f32_i4_sdwa v54, v52 dst_sel:DWORD dst_unused:UNUSED_PRESERVE src0_sel:BYTE_3// 0000000075AC: 7E6C1CF9 00031634
	v_cvt_pk_fp8_f32 v57, v53, v54                             // 0000000075B4: D2A20039 00026D35
	v_lshrrev_b32_e32 v55, 4, v52                              // 0000000075BC: 206E6884
	v_cvt_off_f32_i4_e32 v53, v55                              // 0000000075C0: 7E6A1D37
	v_cvt_off_f32_i4_sdwa v54, v55 dst_sel:DWORD dst_unused:UNUSED_PRESERVE src0_sel:BYTE_2// 0000000075C4: 7E6C1CF9 00021637
	v_cvt_pk_fp8_f32 v56, v53, v54 op_sel:[0,0,1]              // 0000000075CC: D2A24038 00026D35
	v_cvt_off_f32_i4_sdwa v53, v55 dst_sel:DWORD dst_unused:UNUSED_PRESERVE src0_sel:BYTE_1// 0000000075D4: 7E6A1CF9 00011637
	v_cvt_off_f32_i4_sdwa v54, v55 dst_sel:DWORD dst_unused:UNUSED_PRESERVE src0_sel:BYTE_3// 0000000075DC: 7E6C1CF9 00031637
	v_cvt_pk_fp8_f32 v57, v53, v54 op_sel:[0,0,1]              // 0000000075E4: D2A24039 00026D35
	v_accvgpr_write_b32 a236, v56                              // 0000000075EC: D3D940EC 18000138
	v_accvgpr_write_b32 a237, v57                              // 0000000075F4: D3D940ED 18000139
	s_nop 3                                                    // 0000000075FC: BF800003
	v_mfma_f32_16x16x32_fp8_fp8 v[112:115], a[236:237], v[204:205], v[112:115]// 000000007600: D3F30070 0DC399EC
	v_accvgpr_read_b32 v52, a247                               // 000000007608: D3D84034 180001F7
	v_cvt_off_f32_i4_e32 v53, v52                              // 000000007610: 7E6A1D34
	v_cvt_off_f32_i4_sdwa v54, v52 dst_sel:DWORD dst_unused:UNUSED_PRESERVE src0_sel:BYTE_2// 000000007614: 7E6C1CF9 00021634
	v_cvt_pk_fp8_f32 v56, v53, v54                             // 00000000761C: D2A20038 00026D35
	v_cvt_off_f32_i4_sdwa v53, v52 dst_sel:DWORD dst_unused:UNUSED_PRESERVE src0_sel:BYTE_1// 000000007624: 7E6A1CF9 00011634
	v_cvt_off_f32_i4_sdwa v54, v52 dst_sel:DWORD dst_unused:UNUSED_PRESERVE src0_sel:BYTE_3// 00000000762C: 7E6C1CF9 00031634
	v_cvt_pk_fp8_f32 v57, v53, v54                             // 000000007634: D2A20039 00026D35
	v_lshrrev_b32_e32 v55, 4, v52                              // 00000000763C: 206E6884
	v_cvt_off_f32_i4_e32 v53, v55                              // 000000007640: 7E6A1D37
	v_cvt_off_f32_i4_sdwa v54, v55 dst_sel:DWORD dst_unused:UNUSED_PRESERVE src0_sel:BYTE_2// 000000007644: 7E6C1CF9 00021637
	v_cvt_pk_fp8_f32 v56, v53, v54 op_sel:[0,0,1]              // 00000000764C: D2A24038 00026D35
	v_cvt_off_f32_i4_sdwa v53, v55 dst_sel:DWORD dst_unused:UNUSED_PRESERVE src0_sel:BYTE_1// 000000007654: 7E6A1CF9 00011637
	v_cvt_off_f32_i4_sdwa v54, v55 dst_sel:DWORD dst_unused:UNUSED_PRESERVE src0_sel:BYTE_3// 00000000765C: 7E6C1CF9 00031637
	v_cvt_pk_fp8_f32 v57, v53, v54 op_sel:[0,0,1]              // 000000007664: D2A24039 00026D35
	v_accvgpr_write_b32 a238, v56                              // 00000000766C: D3D940EE 18000138
	v_accvgpr_write_b32 a239, v57                              // 000000007674: D3D940EF 18000139
	s_nop 3                                                    // 00000000767C: BF800003
	v_mfma_f32_16x16x32_fp8_fp8 v[112:115], a[238:239], v[206:207], v[112:115]// 000000007680: D3F30070 0DC39DEE
	v_mfma_f32_16x16x32_fp8_fp8 v[116:119], a[224:225], v[208:209], v[116:119]// 000000007688: D3F30074 0DD3A1E0
	v_mfma_f32_16x16x32_fp8_fp8 v[116:119], a[226:227], v[210:211], v[116:119]// 000000007690: D3F30074 0DD3A5E2
	buffer_load_dwordx4 a[116:119], v40, s[24:27], 0 offen offset:1024// 000000007698: E05C1400 80867428
	v_mfma_f32_16x16x32_fp8_fp8 v[116:119], a[228:229], v[212:213], v[116:119]// 0000000076A0: D3F30074 0DD3A9E4
	v_mfma_f32_16x16x32_fp8_fp8 v[116:119], a[230:231], v[214:215], v[116:119]// 0000000076A8: D3F30074 0DD3ADE6
	v_mfma_f32_16x16x32_fp8_fp8 v[116:119], a[232:233], v[216:217], v[116:119]// 0000000076B0: D3F30074 0DD3B1E8
	v_mfma_f32_16x16x32_fp8_fp8 v[116:119], a[234:235], v[218:219], v[116:119]// 0000000076B8: D3F30074 0DD3B5EA
	v_mfma_f32_16x16x32_fp8_fp8 v[116:119], a[236:237], v[220:221], v[116:119]// 0000000076C0: D3F30074 0DD3B9EC
	v_mfma_f32_16x16x32_fp8_fp8 v[116:119], a[238:239], v[222:223], v[116:119]// 0000000076C8: D3F30074 0DD3BDEE
	s_waitcnt vmcnt(14)                                        // 0000000076D0: BF8C0F7E
	v_accvgpr_read_b32 v52, a248                               // 0000000076D4: D3D84034 180001F8
	v_cvt_off_f32_i4_e32 v53, v52                              // 0000000076DC: 7E6A1D34
	v_cvt_off_f32_i4_sdwa v54, v52 dst_sel:DWORD dst_unused:UNUSED_PRESERVE src0_sel:BYTE_2// 0000000076E0: 7E6C1CF9 00021634
	v_cvt_pk_fp8_f32 v56, v53, v54                             // 0000000076E8: D2A20038 00026D35
	v_cvt_off_f32_i4_sdwa v53, v52 dst_sel:DWORD dst_unused:UNUSED_PRESERVE src0_sel:BYTE_1// 0000000076F0: 7E6A1CF9 00011634
	v_cvt_off_f32_i4_sdwa v54, v52 dst_sel:DWORD dst_unused:UNUSED_PRESERVE src0_sel:BYTE_3// 0000000076F8: 7E6C1CF9 00031634
	v_cvt_pk_fp8_f32 v57, v53, v54                             // 000000007700: D2A20039 00026D35
	v_lshrrev_b32_e32 v55, 4, v52                              // 000000007708: 206E6884
	v_cvt_off_f32_i4_e32 v53, v55                              // 00000000770C: 7E6A1D37
	v_cvt_off_f32_i4_sdwa v54, v55 dst_sel:DWORD dst_unused:UNUSED_PRESERVE src0_sel:BYTE_2// 000000007710: 7E6C1CF9 00021637
	v_cvt_pk_fp8_f32 v56, v53, v54 op_sel:[0,0,1]              // 000000007718: D2A24038 00026D35
	v_cvt_off_f32_i4_sdwa v53, v55 dst_sel:DWORD dst_unused:UNUSED_PRESERVE src0_sel:BYTE_1// 000000007720: 7E6A1CF9 00011637
	v_cvt_off_f32_i4_sdwa v54, v55 dst_sel:DWORD dst_unused:UNUSED_PRESERVE src0_sel:BYTE_3// 000000007728: 7E6C1CF9 00031637
	v_cvt_pk_fp8_f32 v57, v53, v54 op_sel:[0,0,1]              // 000000007730: D2A24039 00026D35
	v_accvgpr_write_b32 a240, v56                              // 000000007738: D3D940F0 18000138
	v_accvgpr_write_b32 a241, v57                              // 000000007740: D3D940F1 18000139
	s_nop 3                                                    // 000000007748: BF800003
	v_mfma_f32_16x16x32_fp8_fp8 v[120:123], a[240:241], v[192:193], v[120:123]// 00000000774C: D3F30078 0DE381F0
	v_accvgpr_read_b32 v52, a249                               // 000000007754: D3D84034 180001F9
	v_cvt_off_f32_i4_e32 v53, v52                              // 00000000775C: 7E6A1D34
	v_cvt_off_f32_i4_sdwa v54, v52 dst_sel:DWORD dst_unused:UNUSED_PRESERVE src0_sel:BYTE_2// 000000007760: 7E6C1CF9 00021634
	v_cvt_pk_fp8_f32 v56, v53, v54                             // 000000007768: D2A20038 00026D35
	v_cvt_off_f32_i4_sdwa v53, v52 dst_sel:DWORD dst_unused:UNUSED_PRESERVE src0_sel:BYTE_1// 000000007770: 7E6A1CF9 00011634
	v_cvt_off_f32_i4_sdwa v54, v52 dst_sel:DWORD dst_unused:UNUSED_PRESERVE src0_sel:BYTE_3// 000000007778: 7E6C1CF9 00031634
	v_cvt_pk_fp8_f32 v57, v53, v54                             // 000000007780: D2A20039 00026D35
	v_lshrrev_b32_e32 v55, 4, v52                              // 000000007788: 206E6884
	v_cvt_off_f32_i4_e32 v53, v55                              // 00000000778C: 7E6A1D37
	v_cvt_off_f32_i4_sdwa v54, v55 dst_sel:DWORD dst_unused:UNUSED_PRESERVE src0_sel:BYTE_2// 000000007790: 7E6C1CF9 00021637
	v_cvt_pk_fp8_f32 v56, v53, v54 op_sel:[0,0,1]              // 000000007798: D2A24038 00026D35
	v_cvt_off_f32_i4_sdwa v53, v55 dst_sel:DWORD dst_unused:UNUSED_PRESERVE src0_sel:BYTE_1// 0000000077A0: 7E6A1CF9 00011637
	v_cvt_off_f32_i4_sdwa v54, v55 dst_sel:DWORD dst_unused:UNUSED_PRESERVE src0_sel:BYTE_3// 0000000077A8: 7E6C1CF9 00031637
	v_cvt_pk_fp8_f32 v57, v53, v54 op_sel:[0,0,1]              // 0000000077B0: D2A24039 00026D35
	v_accvgpr_write_b32 a242, v56                              // 0000000077B8: D3D940F2 18000138
	v_accvgpr_write_b32 a243, v57                              // 0000000077C0: D3D940F3 18000139
	s_nop 3                                                    // 0000000077C8: BF800003
	v_mfma_f32_16x16x32_fp8_fp8 v[120:123], a[242:243], v[194:195], v[120:123]// 0000000077CC: D3F30078 0DE385F2
	buffer_load_dwordx4 a[120:123], v41, s[24:27], 0 offen     // 0000000077D4: E05C1000 80867829
	v_accvgpr_read_b32 v52, a250                               // 0000000077DC: D3D84034 180001FA
	v_cvt_off_f32_i4_e32 v53, v52                              // 0000000077E4: 7E6A1D34
	v_cvt_off_f32_i4_sdwa v54, v52 dst_sel:DWORD dst_unused:UNUSED_PRESERVE src0_sel:BYTE_2// 0000000077E8: 7E6C1CF9 00021634
	v_cvt_pk_fp8_f32 v56, v53, v54                             // 0000000077F0: D2A20038 00026D35
	v_cvt_off_f32_i4_sdwa v53, v52 dst_sel:DWORD dst_unused:UNUSED_PRESERVE src0_sel:BYTE_1// 0000000077F8: 7E6A1CF9 00011634
	v_cvt_off_f32_i4_sdwa v54, v52 dst_sel:DWORD dst_unused:UNUSED_PRESERVE src0_sel:BYTE_3// 000000007800: 7E6C1CF9 00031634
	v_cvt_pk_fp8_f32 v57, v53, v54                             // 000000007808: D2A20039 00026D35
	v_lshrrev_b32_e32 v55, 4, v52                              // 000000007810: 206E6884
	v_cvt_off_f32_i4_e32 v53, v55                              // 000000007814: 7E6A1D37
	v_cvt_off_f32_i4_sdwa v54, v55 dst_sel:DWORD dst_unused:UNUSED_PRESERVE src0_sel:BYTE_2// 000000007818: 7E6C1CF9 00021637
	v_cvt_pk_fp8_f32 v56, v53, v54 op_sel:[0,0,1]              // 000000007820: D2A24038 00026D35
	v_cvt_off_f32_i4_sdwa v53, v55 dst_sel:DWORD dst_unused:UNUSED_PRESERVE src0_sel:BYTE_1// 000000007828: 7E6A1CF9 00011637
	v_cvt_off_f32_i4_sdwa v54, v55 dst_sel:DWORD dst_unused:UNUSED_PRESERVE src0_sel:BYTE_3// 000000007830: 7E6C1CF9 00031637
	v_cvt_pk_fp8_f32 v57, v53, v54 op_sel:[0,0,1]              // 000000007838: D2A24039 00026D35
	v_accvgpr_write_b32 a244, v56                              // 000000007840: D3D940F4 18000138
	v_accvgpr_write_b32 a245, v57                              // 000000007848: D3D940F5 18000139
	s_nop 3                                                    // 000000007850: BF800003
	v_mfma_f32_16x16x32_fp8_fp8 v[120:123], a[244:245], v[196:197], v[120:123]// 000000007854: D3F30078 0DE389F4
	v_accvgpr_read_b32 v52, a251                               // 00000000785C: D3D84034 180001FB
	v_cvt_off_f32_i4_e32 v53, v52                              // 000000007864: 7E6A1D34
	v_cvt_off_f32_i4_sdwa v54, v52 dst_sel:DWORD dst_unused:UNUSED_PRESERVE src0_sel:BYTE_2// 000000007868: 7E6C1CF9 00021634
	v_cvt_pk_fp8_f32 v56, v53, v54                             // 000000007870: D2A20038 00026D35
	v_cvt_off_f32_i4_sdwa v53, v52 dst_sel:DWORD dst_unused:UNUSED_PRESERVE src0_sel:BYTE_1// 000000007878: 7E6A1CF9 00011634
	v_cvt_off_f32_i4_sdwa v54, v52 dst_sel:DWORD dst_unused:UNUSED_PRESERVE src0_sel:BYTE_3// 000000007880: 7E6C1CF9 00031634
	v_cvt_pk_fp8_f32 v57, v53, v54                             // 000000007888: D2A20039 00026D35
	v_lshrrev_b32_e32 v55, 4, v52                              // 000000007890: 206E6884
	v_cvt_off_f32_i4_e32 v53, v55                              // 000000007894: 7E6A1D37
	v_cvt_off_f32_i4_sdwa v54, v55 dst_sel:DWORD dst_unused:UNUSED_PRESERVE src0_sel:BYTE_2// 000000007898: 7E6C1CF9 00021637
	v_cvt_pk_fp8_f32 v56, v53, v54 op_sel:[0,0,1]              // 0000000078A0: D2A24038 00026D35
	v_cvt_off_f32_i4_sdwa v53, v55 dst_sel:DWORD dst_unused:UNUSED_PRESERVE src0_sel:BYTE_1// 0000000078A8: 7E6A1CF9 00011637
	v_cvt_off_f32_i4_sdwa v54, v55 dst_sel:DWORD dst_unused:UNUSED_PRESERVE src0_sel:BYTE_3// 0000000078B0: 7E6C1CF9 00031637
	v_cvt_pk_fp8_f32 v57, v53, v54 op_sel:[0,0,1]              // 0000000078B8: D2A24039 00026D35
	v_accvgpr_write_b32 a246, v56                              // 0000000078C0: D3D940F6 18000138
	v_accvgpr_write_b32 a247, v57                              // 0000000078C8: D3D940F7 18000139
	s_nop 3                                                    // 0000000078D0: BF800003
	v_mfma_f32_16x16x32_fp8_fp8 v[120:123], a[246:247], v[198:199], v[120:123]// 0000000078D4: D3F30078 0DE38DF6
	v_accvgpr_read_b32 v52, a252                               // 0000000078DC: D3D84034 180001FC
	v_cvt_off_f32_i4_e32 v53, v52                              // 0000000078E4: 7E6A1D34
	v_cvt_off_f32_i4_sdwa v54, v52 dst_sel:DWORD dst_unused:UNUSED_PRESERVE src0_sel:BYTE_2// 0000000078E8: 7E6C1CF9 00021634
	v_cvt_pk_fp8_f32 v56, v53, v54                             // 0000000078F0: D2A20038 00026D35
	v_cvt_off_f32_i4_sdwa v53, v52 dst_sel:DWORD dst_unused:UNUSED_PRESERVE src0_sel:BYTE_1// 0000000078F8: 7E6A1CF9 00011634
	v_cvt_off_f32_i4_sdwa v54, v52 dst_sel:DWORD dst_unused:UNUSED_PRESERVE src0_sel:BYTE_3// 000000007900: 7E6C1CF9 00031634
	v_cvt_pk_fp8_f32 v57, v53, v54                             // 000000007908: D2A20039 00026D35
	v_lshrrev_b32_e32 v55, 4, v52                              // 000000007910: 206E6884
	v_cvt_off_f32_i4_e32 v53, v55                              // 000000007914: 7E6A1D37
	v_cvt_off_f32_i4_sdwa v54, v55 dst_sel:DWORD dst_unused:UNUSED_PRESERVE src0_sel:BYTE_2// 000000007918: 7E6C1CF9 00021637
	v_cvt_pk_fp8_f32 v56, v53, v54 op_sel:[0,0,1]              // 000000007920: D2A24038 00026D35
	v_cvt_off_f32_i4_sdwa v53, v55 dst_sel:DWORD dst_unused:UNUSED_PRESERVE src0_sel:BYTE_1// 000000007928: 7E6A1CF9 00011637
	v_cvt_off_f32_i4_sdwa v54, v55 dst_sel:DWORD dst_unused:UNUSED_PRESERVE src0_sel:BYTE_3// 000000007930: 7E6C1CF9 00031637
	v_cvt_pk_fp8_f32 v57, v53, v54 op_sel:[0,0,1]              // 000000007938: D2A24039 00026D35
	v_accvgpr_write_b32 a248, v56                              // 000000007940: D3D940F8 18000138
	v_accvgpr_write_b32 a249, v57                              // 000000007948: D3D940F9 18000139
	s_nop 3                                                    // 000000007950: BF800003
	v_mfma_f32_16x16x32_fp8_fp8 v[120:123], a[248:249], v[200:201], v[120:123]// 000000007954: D3F30078 0DE391F8
	v_accvgpr_read_b32 v52, a253                               // 00000000795C: D3D84034 180001FD
	v_cvt_off_f32_i4_e32 v53, v52                              // 000000007964: 7E6A1D34
	v_cvt_off_f32_i4_sdwa v54, v52 dst_sel:DWORD dst_unused:UNUSED_PRESERVE src0_sel:BYTE_2// 000000007968: 7E6C1CF9 00021634
	v_cvt_pk_fp8_f32 v56, v53, v54                             // 000000007970: D2A20038 00026D35
	v_cvt_off_f32_i4_sdwa v53, v52 dst_sel:DWORD dst_unused:UNUSED_PRESERVE src0_sel:BYTE_1// 000000007978: 7E6A1CF9 00011634
	v_cvt_off_f32_i4_sdwa v54, v52 dst_sel:DWORD dst_unused:UNUSED_PRESERVE src0_sel:BYTE_3// 000000007980: 7E6C1CF9 00031634
	v_cvt_pk_fp8_f32 v57, v53, v54                             // 000000007988: D2A20039 00026D35
	v_lshrrev_b32_e32 v55, 4, v52                              // 000000007990: 206E6884
	v_cvt_off_f32_i4_e32 v53, v55                              // 000000007994: 7E6A1D37
	v_cvt_off_f32_i4_sdwa v54, v55 dst_sel:DWORD dst_unused:UNUSED_PRESERVE src0_sel:BYTE_2// 000000007998: 7E6C1CF9 00021637
	v_cvt_pk_fp8_f32 v56, v53, v54 op_sel:[0,0,1]              // 0000000079A0: D2A24038 00026D35
	v_cvt_off_f32_i4_sdwa v53, v55 dst_sel:DWORD dst_unused:UNUSED_PRESERVE src0_sel:BYTE_1// 0000000079A8: 7E6A1CF9 00011637
	v_cvt_off_f32_i4_sdwa v54, v55 dst_sel:DWORD dst_unused:UNUSED_PRESERVE src0_sel:BYTE_3// 0000000079B0: 7E6C1CF9 00031637
	v_cvt_pk_fp8_f32 v57, v53, v54 op_sel:[0,0,1]              // 0000000079B8: D2A24039 00026D35
	v_accvgpr_write_b32 a250, v56                              // 0000000079C0: D3D940FA 18000138
	v_accvgpr_write_b32 a251, v57                              // 0000000079C8: D3D940FB 18000139
	s_nop 3                                                    // 0000000079D0: BF800003
	v_mfma_f32_16x16x32_fp8_fp8 v[120:123], a[250:251], v[202:203], v[120:123]// 0000000079D4: D3F30078 0DE395FA
	v_accvgpr_read_b32 v52, a254                               // 0000000079DC: D3D84034 180001FE
	v_cvt_off_f32_i4_e32 v53, v52                              // 0000000079E4: 7E6A1D34
	v_cvt_off_f32_i4_sdwa v54, v52 dst_sel:DWORD dst_unused:UNUSED_PRESERVE src0_sel:BYTE_2// 0000000079E8: 7E6C1CF9 00021634
	v_cvt_pk_fp8_f32 v56, v53, v54                             // 0000000079F0: D2A20038 00026D35
	v_cvt_off_f32_i4_sdwa v53, v52 dst_sel:DWORD dst_unused:UNUSED_PRESERVE src0_sel:BYTE_1// 0000000079F8: 7E6A1CF9 00011634
	v_cvt_off_f32_i4_sdwa v54, v52 dst_sel:DWORD dst_unused:UNUSED_PRESERVE src0_sel:BYTE_3// 000000007A00: 7E6C1CF9 00031634
	v_cvt_pk_fp8_f32 v57, v53, v54                             // 000000007A08: D2A20039 00026D35
	v_lshrrev_b32_e32 v55, 4, v52                              // 000000007A10: 206E6884
	v_cvt_off_f32_i4_e32 v53, v55                              // 000000007A14: 7E6A1D37
	v_cvt_off_f32_i4_sdwa v54, v55 dst_sel:DWORD dst_unused:UNUSED_PRESERVE src0_sel:BYTE_2// 000000007A18: 7E6C1CF9 00021637
	v_cvt_pk_fp8_f32 v56, v53, v54 op_sel:[0,0,1]              // 000000007A20: D2A24038 00026D35
	v_cvt_off_f32_i4_sdwa v53, v55 dst_sel:DWORD dst_unused:UNUSED_PRESERVE src0_sel:BYTE_1// 000000007A28: 7E6A1CF9 00011637
	v_cvt_off_f32_i4_sdwa v54, v55 dst_sel:DWORD dst_unused:UNUSED_PRESERVE src0_sel:BYTE_3// 000000007A30: 7E6C1CF9 00031637
	v_cvt_pk_fp8_f32 v57, v53, v54 op_sel:[0,0,1]              // 000000007A38: D2A24039 00026D35
	v_accvgpr_write_b32 a252, v56                              // 000000007A40: D3D940FC 18000138
	v_accvgpr_write_b32 a253, v57                              // 000000007A48: D3D940FD 18000139
	s_nop 3                                                    // 000000007A50: BF800003
	v_mfma_f32_16x16x32_fp8_fp8 v[120:123], a[252:253], v[204:205], v[120:123]// 000000007A54: D3F30078 0DE399FC
	v_accvgpr_read_b32 v52, a255                               // 000000007A5C: D3D84034 180001FF
	v_cvt_off_f32_i4_e32 v53, v52                              // 000000007A64: 7E6A1D34
	v_cvt_off_f32_i4_sdwa v54, v52 dst_sel:DWORD dst_unused:UNUSED_PRESERVE src0_sel:BYTE_2// 000000007A68: 7E6C1CF9 00021634
	v_cvt_pk_fp8_f32 v56, v53, v54                             // 000000007A70: D2A20038 00026D35
	v_cvt_off_f32_i4_sdwa v53, v52 dst_sel:DWORD dst_unused:UNUSED_PRESERVE src0_sel:BYTE_1// 000000007A78: 7E6A1CF9 00011634
	v_cvt_off_f32_i4_sdwa v54, v52 dst_sel:DWORD dst_unused:UNUSED_PRESERVE src0_sel:BYTE_3// 000000007A80: 7E6C1CF9 00031634
	v_cvt_pk_fp8_f32 v57, v53, v54                             // 000000007A88: D2A20039 00026D35
	v_lshrrev_b32_e32 v55, 4, v52                              // 000000007A90: 206E6884
	v_cvt_off_f32_i4_e32 v53, v55                              // 000000007A94: 7E6A1D37
	v_cvt_off_f32_i4_sdwa v54, v55 dst_sel:DWORD dst_unused:UNUSED_PRESERVE src0_sel:BYTE_2// 000000007A98: 7E6C1CF9 00021637
	v_cvt_pk_fp8_f32 v56, v53, v54 op_sel:[0,0,1]              // 000000007AA0: D2A24038 00026D35
	v_cvt_off_f32_i4_sdwa v53, v55 dst_sel:DWORD dst_unused:UNUSED_PRESERVE src0_sel:BYTE_1// 000000007AA8: 7E6A1CF9 00011637
	v_cvt_off_f32_i4_sdwa v54, v55 dst_sel:DWORD dst_unused:UNUSED_PRESERVE src0_sel:BYTE_3// 000000007AB0: 7E6C1CF9 00031637
	v_cvt_pk_fp8_f32 v57, v53, v54 op_sel:[0,0,1]              // 000000007AB8: D2A24039 00026D35
	v_accvgpr_write_b32 a254, v56                              // 000000007AC0: D3D940FE 18000138
	v_accvgpr_write_b32 a255, v57                              // 000000007AC8: D3D940FF 18000139
	s_nop 3                                                    // 000000007AD0: BF800003
	v_mfma_f32_16x16x32_fp8_fp8 v[120:123], a[254:255], v[206:207], v[120:123]// 000000007AD4: D3F30078 0DE39DFE
	v_mfma_f32_16x16x32_fp8_fp8 v[124:127], a[240:241], v[208:209], v[124:127]// 000000007ADC: D3F3007C 0DF3A1F0
	v_mfma_f32_16x16x32_fp8_fp8 v[124:127], a[242:243], v[210:211], v[124:127]// 000000007AE4: D3F3007C 0DF3A5F2
	buffer_load_dwordx4 a[124:127], v41, s[24:27], 0 offen offset:1024// 000000007AEC: E05C1400 80867C29
	v_mfma_f32_16x16x32_fp8_fp8 v[124:127], a[244:245], v[212:213], v[124:127]// 000000007AF4: D3F3007C 0DF3A9F4
	v_mfma_f32_16x16x32_fp8_fp8 v[124:127], a[246:247], v[214:215], v[124:127]// 000000007AFC: D3F3007C 0DF3ADF6
	v_mfma_f32_16x16x32_fp8_fp8 v[124:127], a[248:249], v[216:217], v[124:127]// 000000007B04: D3F3007C 0DF3B1F8
	v_mfma_f32_16x16x32_fp8_fp8 v[124:127], a[250:251], v[218:219], v[124:127]// 000000007B0C: D3F3007C 0DF3B5FA
	v_mfma_f32_16x16x32_fp8_fp8 v[124:127], a[252:253], v[220:221], v[124:127]// 000000007B14: D3F3007C 0DF3B9FC
	v_mfma_f32_16x16x32_fp8_fp8 v[124:127], a[254:255], v[222:223], v[124:127]// 000000007B1C: D3F3007C 0DF3BDFE
	s_add_u32 s60, 0x200, s80                                  // 000000007B24: 803C50FF 00000200
	s_cmp_lt_u32 s60, s81                                      // 000000007B2C: BF0A513C
	s_cselect_b32 s57, s57, 0                                  // 000000007B30: 85398039
	s_add_u32 s60, 0x200, s80                                  // 000000007B34: 803C50FF 00000200
	s_cmp_lt_u32 s60, s81                                      // 000000007B3C: BF0A513C
	s_cselect_b32 s58, s58, 0                                  // 000000007B40: 853A803A
	s_add_u32 s20, s57, s20                                    // 000000007B44: 80141439
	s_addc_u32 s21, 0, s21                                     // 000000007B48: 82151580
	s_add_u32 s24, s58, s24                                    // 000000007B4C: 8018183A
	s_addc_u32 s25, 0, s25                                     // 000000007B50: 82191980
	s_add_u32 s92, s90, s92                                    // 000000007B54: 805C5C5A
	s_addc_u32 s93, 0, s93                                     // 000000007B58: 825D5D80
	s_addk_i32 s80, 0x100                                      // 000000007B5C: B7500100
	s_cmp_lt_i32 s80, s81                                      // 000000007B60: BF045150
	s_cbranch_scc0 label_25AB                                  // 000000007B64: BF841191
	s_waitcnt vmcnt(12) lgkmcnt(0)                             // 000000007B68: BF8C007C
	s_barrier                                                  // 000000007B6C: BF8A0000
	v_accvgpr_read_b32 v52, a64                                // 000000007B70: D3D84034 18000140
	v_cvt_off_f32_i4_e32 v53, v52                              // 000000007B78: 7E6A1D34
	v_cvt_off_f32_i4_sdwa v54, v52 dst_sel:DWORD dst_unused:UNUSED_PRESERVE src0_sel:BYTE_2// 000000007B7C: 7E6C1CF9 00021634
	v_cvt_pk_fp8_f32 v56, v53, v54                             // 000000007B84: D2A20038 00026D35
	v_cvt_off_f32_i4_sdwa v53, v52 dst_sel:DWORD dst_unused:UNUSED_PRESERVE src0_sel:BYTE_1// 000000007B8C: 7E6A1CF9 00011634
	v_cvt_off_f32_i4_sdwa v54, v52 dst_sel:DWORD dst_unused:UNUSED_PRESERVE src0_sel:BYTE_3// 000000007B94: 7E6C1CF9 00031634
	v_cvt_pk_fp8_f32 v57, v53, v54                             // 000000007B9C: D2A20039 00026D35
	v_lshrrev_b32_e32 v55, 4, v52                              // 000000007BA4: 206E6884
	v_cvt_off_f32_i4_e32 v53, v55                              // 000000007BA8: 7E6A1D37
	v_cvt_off_f32_i4_sdwa v54, v55 dst_sel:DWORD dst_unused:UNUSED_PRESERVE src0_sel:BYTE_2// 000000007BAC: 7E6C1CF9 00021637
	v_cvt_pk_fp8_f32 v56, v53, v54 op_sel:[0,0,1]              // 000000007BB4: D2A24038 00026D35
	v_cvt_off_f32_i4_sdwa v53, v55 dst_sel:DWORD dst_unused:UNUSED_PRESERVE src0_sel:BYTE_1// 000000007BBC: 7E6A1CF9 00011637
	v_cvt_off_f32_i4_sdwa v54, v55 dst_sel:DWORD dst_unused:UNUSED_PRESERVE src0_sel:BYTE_3// 000000007BC4: 7E6C1CF9 00031637
	v_cvt_pk_fp8_f32 v57, v53, v54 op_sel:[0,0,1]              // 000000007BCC: D2A24039 00026D35
	v_accvgpr_write_b32 a0, v56                                // 000000007BD4: D3D94000 18000138
	v_accvgpr_write_b32 a1, v57                                // 000000007BDC: D3D94001 18000139
	s_nop 3                                                    // 000000007BE4: BF800003
	v_mfma_f32_16x16x32_fp8_fp8 v[128:131], a[0:1], v[224:225], v[128:131]// 000000007BE8: D3F30080 0E03C100
	v_accvgpr_read_b32 v52, a65                                // 000000007BF0: D3D84034 18000141
	v_cvt_off_f32_i4_e32 v53, v52                              // 000000007BF8: 7E6A1D34
	v_cvt_off_f32_i4_sdwa v54, v52 dst_sel:DWORD dst_unused:UNUSED_PRESERVE src0_sel:BYTE_2// 000000007BFC: 7E6C1CF9 00021634
	v_cvt_pk_fp8_f32 v56, v53, v54                             // 000000007C04: D2A20038 00026D35
	v_cvt_off_f32_i4_sdwa v53, v52 dst_sel:DWORD dst_unused:UNUSED_PRESERVE src0_sel:BYTE_1// 000000007C0C: 7E6A1CF9 00011634
	v_cvt_off_f32_i4_sdwa v54, v52 dst_sel:DWORD dst_unused:UNUSED_PRESERVE src0_sel:BYTE_3// 000000007C14: 7E6C1CF9 00031634
	v_cvt_pk_fp8_f32 v57, v53, v54                             // 000000007C1C: D2A20039 00026D35
	v_lshrrev_b32_e32 v55, 4, v52                              // 000000007C24: 206E6884
	v_cvt_off_f32_i4_e32 v53, v55                              // 000000007C28: 7E6A1D37
	v_cvt_off_f32_i4_sdwa v54, v55 dst_sel:DWORD dst_unused:UNUSED_PRESERVE src0_sel:BYTE_2// 000000007C2C: 7E6C1CF9 00021637
	v_cvt_pk_fp8_f32 v56, v53, v54 op_sel:[0,0,1]              // 000000007C34: D2A24038 00026D35
	v_cvt_off_f32_i4_sdwa v53, v55 dst_sel:DWORD dst_unused:UNUSED_PRESERVE src0_sel:BYTE_1// 000000007C3C: 7E6A1CF9 00011637
	v_cvt_off_f32_i4_sdwa v54, v55 dst_sel:DWORD dst_unused:UNUSED_PRESERVE src0_sel:BYTE_3// 000000007C44: 7E6C1CF9 00031637
	v_cvt_pk_fp8_f32 v57, v53, v54 op_sel:[0,0,1]              // 000000007C4C: D2A24039 00026D35
	v_accvgpr_write_b32 a2, v56                                // 000000007C54: D3D94002 18000138
	v_accvgpr_write_b32 a3, v57                                // 000000007C5C: D3D94003 18000139
	s_nop 3                                                    // 000000007C64: BF800003
	v_mfma_f32_16x16x32_fp8_fp8 v[128:131], a[2:3], v[226:227], v[128:131]// 000000007C68: D3F30080 0E03C502
	buffer_load_dwordx4 a[192:195], v34, s[92:95], 0 offen     // 000000007C70: E05C1000 8097C022
	v_accvgpr_read_b32 v52, a66                                // 000000007C78: D3D84034 18000142
	v_cvt_off_f32_i4_e32 v53, v52                              // 000000007C80: 7E6A1D34
	v_cvt_off_f32_i4_sdwa v54, v52 dst_sel:DWORD dst_unused:UNUSED_PRESERVE src0_sel:BYTE_2// 000000007C84: 7E6C1CF9 00021634
	v_cvt_pk_fp8_f32 v56, v53, v54                             // 000000007C8C: D2A20038 00026D35
	v_cvt_off_f32_i4_sdwa v53, v52 dst_sel:DWORD dst_unused:UNUSED_PRESERVE src0_sel:BYTE_1// 000000007C94: 7E6A1CF9 00011634
	v_cvt_off_f32_i4_sdwa v54, v52 dst_sel:DWORD dst_unused:UNUSED_PRESERVE src0_sel:BYTE_3// 000000007C9C: 7E6C1CF9 00031634
	v_cvt_pk_fp8_f32 v57, v53, v54                             // 000000007CA4: D2A20039 00026D35
	v_lshrrev_b32_e32 v55, 4, v52                              // 000000007CAC: 206E6884
	v_cvt_off_f32_i4_e32 v53, v55                              // 000000007CB0: 7E6A1D37
	v_cvt_off_f32_i4_sdwa v54, v55 dst_sel:DWORD dst_unused:UNUSED_PRESERVE src0_sel:BYTE_2// 000000007CB4: 7E6C1CF9 00021637
	v_cvt_pk_fp8_f32 v56, v53, v54 op_sel:[0,0,1]              // 000000007CBC: D2A24038 00026D35
	v_cvt_off_f32_i4_sdwa v53, v55 dst_sel:DWORD dst_unused:UNUSED_PRESERVE src0_sel:BYTE_1// 000000007CC4: 7E6A1CF9 00011637
	v_cvt_off_f32_i4_sdwa v54, v55 dst_sel:DWORD dst_unused:UNUSED_PRESERVE src0_sel:BYTE_3// 000000007CCC: 7E6C1CF9 00031637
	v_cvt_pk_fp8_f32 v57, v53, v54 op_sel:[0,0,1]              // 000000007CD4: D2A24039 00026D35
	v_accvgpr_write_b32 a4, v56                                // 000000007CDC: D3D94004 18000138
	v_accvgpr_write_b32 a5, v57                                // 000000007CE4: D3D94005 18000139
	s_nop 3                                                    // 000000007CEC: BF800003
	v_mfma_f32_16x16x32_fp8_fp8 v[128:131], a[4:5], v[228:229], v[128:131]// 000000007CF0: D3F30080 0E03C904
	v_accvgpr_read_b32 v52, a67                                // 000000007CF8: D3D84034 18000143
	v_cvt_off_f32_i4_e32 v53, v52                              // 000000007D00: 7E6A1D34
	v_cvt_off_f32_i4_sdwa v54, v52 dst_sel:DWORD dst_unused:UNUSED_PRESERVE src0_sel:BYTE_2// 000000007D04: 7E6C1CF9 00021634
	v_cvt_pk_fp8_f32 v56, v53, v54                             // 000000007D0C: D2A20038 00026D35
	v_cvt_off_f32_i4_sdwa v53, v52 dst_sel:DWORD dst_unused:UNUSED_PRESERVE src0_sel:BYTE_1// 000000007D14: 7E6A1CF9 00011634
	v_cvt_off_f32_i4_sdwa v54, v52 dst_sel:DWORD dst_unused:UNUSED_PRESERVE src0_sel:BYTE_3// 000000007D1C: 7E6C1CF9 00031634
	v_cvt_pk_fp8_f32 v57, v53, v54                             // 000000007D24: D2A20039 00026D35
	v_lshrrev_b32_e32 v55, 4, v52                              // 000000007D2C: 206E6884
	v_cvt_off_f32_i4_e32 v53, v55                              // 000000007D30: 7E6A1D37
	v_cvt_off_f32_i4_sdwa v54, v55 dst_sel:DWORD dst_unused:UNUSED_PRESERVE src0_sel:BYTE_2// 000000007D34: 7E6C1CF9 00021637
	v_cvt_pk_fp8_f32 v56, v53, v54 op_sel:[0,0,1]              // 000000007D3C: D2A24038 00026D35
	v_cvt_off_f32_i4_sdwa v53, v55 dst_sel:DWORD dst_unused:UNUSED_PRESERVE src0_sel:BYTE_1// 000000007D44: 7E6A1CF9 00011637
	v_cvt_off_f32_i4_sdwa v54, v55 dst_sel:DWORD dst_unused:UNUSED_PRESERVE src0_sel:BYTE_3// 000000007D4C: 7E6C1CF9 00031637
	v_cvt_pk_fp8_f32 v57, v53, v54 op_sel:[0,0,1]              // 000000007D54: D2A24039 00026D35
	v_accvgpr_write_b32 a6, v56                                // 000000007D5C: D3D94006 18000138
	v_accvgpr_write_b32 a7, v57                                // 000000007D64: D3D94007 18000139
	s_nop 3                                                    // 000000007D6C: BF800003
	v_mfma_f32_16x16x32_fp8_fp8 v[128:131], a[6:7], v[230:231], v[128:131]// 000000007D70: D3F30080 0E03CD06
	buffer_load_dword v26, s[20:23], 0 offen lds               // 000000007D78: E0511000 8005001A
	s_add_u32 m0, 0x100, s50                                   // 000000007D80: 807C32FF 00000100
	v_accvgpr_read_b32 v52, a68                                // 000000007D88: D3D84034 18000144
	v_cvt_off_f32_i4_e32 v53, v52                              // 000000007D90: 7E6A1D34
	v_cvt_off_f32_i4_sdwa v54, v52 dst_sel:DWORD dst_unused:UNUSED_PRESERVE src0_sel:BYTE_2// 000000007D94: 7E6C1CF9 00021634
	v_cvt_pk_fp8_f32 v56, v53, v54                             // 000000007D9C: D2A20038 00026D35
	v_cvt_off_f32_i4_sdwa v53, v52 dst_sel:DWORD dst_unused:UNUSED_PRESERVE src0_sel:BYTE_1// 000000007DA4: 7E6A1CF9 00011634
	v_cvt_off_f32_i4_sdwa v54, v52 dst_sel:DWORD dst_unused:UNUSED_PRESERVE src0_sel:BYTE_3// 000000007DAC: 7E6C1CF9 00031634
	v_cvt_pk_fp8_f32 v57, v53, v54                             // 000000007DB4: D2A20039 00026D35
	v_lshrrev_b32_e32 v55, 4, v52                              // 000000007DBC: 206E6884
	v_cvt_off_f32_i4_e32 v53, v55                              // 000000007DC0: 7E6A1D37
	v_cvt_off_f32_i4_sdwa v54, v55 dst_sel:DWORD dst_unused:UNUSED_PRESERVE src0_sel:BYTE_2// 000000007DC4: 7E6C1CF9 00021637
	v_cvt_pk_fp8_f32 v56, v53, v54 op_sel:[0,0,1]              // 000000007DCC: D2A24038 00026D35
	v_cvt_off_f32_i4_sdwa v53, v55 dst_sel:DWORD dst_unused:UNUSED_PRESERVE src0_sel:BYTE_1// 000000007DD4: 7E6A1CF9 00011637
	v_cvt_off_f32_i4_sdwa v54, v55 dst_sel:DWORD dst_unused:UNUSED_PRESERVE src0_sel:BYTE_3// 000000007DDC: 7E6C1CF9 00031637
	v_cvt_pk_fp8_f32 v57, v53, v54 op_sel:[0,0,1]              // 000000007DE4: D2A24039 00026D35
	v_accvgpr_write_b32 a8, v56                                // 000000007DEC: D3D94008 18000138
	v_accvgpr_write_b32 a9, v57                                // 000000007DF4: D3D94009 18000139
	s_nop 3                                                    // 000000007DFC: BF800003
	v_mfma_f32_16x16x32_fp8_fp8 v[128:131], a[8:9], v[232:233], v[128:131]// 000000007E00: D3F30080 0E03D108
	v_accvgpr_read_b32 v52, a69                                // 000000007E08: D3D84034 18000145
	v_cvt_off_f32_i4_e32 v53, v52                              // 000000007E10: 7E6A1D34
	v_cvt_off_f32_i4_sdwa v54, v52 dst_sel:DWORD dst_unused:UNUSED_PRESERVE src0_sel:BYTE_2// 000000007E14: 7E6C1CF9 00021634
	v_cvt_pk_fp8_f32 v56, v53, v54                             // 000000007E1C: D2A20038 00026D35
	v_cvt_off_f32_i4_sdwa v53, v52 dst_sel:DWORD dst_unused:UNUSED_PRESERVE src0_sel:BYTE_1// 000000007E24: 7E6A1CF9 00011634
	v_cvt_off_f32_i4_sdwa v54, v52 dst_sel:DWORD dst_unused:UNUSED_PRESERVE src0_sel:BYTE_3// 000000007E2C: 7E6C1CF9 00031634
	v_cvt_pk_fp8_f32 v57, v53, v54                             // 000000007E34: D2A20039 00026D35
	v_lshrrev_b32_e32 v55, 4, v52                              // 000000007E3C: 206E6884
	v_cvt_off_f32_i4_e32 v53, v55                              // 000000007E40: 7E6A1D37
	v_cvt_off_f32_i4_sdwa v54, v55 dst_sel:DWORD dst_unused:UNUSED_PRESERVE src0_sel:BYTE_2// 000000007E44: 7E6C1CF9 00021637
	v_cvt_pk_fp8_f32 v56, v53, v54 op_sel:[0,0,1]              // 000000007E4C: D2A24038 00026D35
	v_cvt_off_f32_i4_sdwa v53, v55 dst_sel:DWORD dst_unused:UNUSED_PRESERVE src0_sel:BYTE_1// 000000007E54: 7E6A1CF9 00011637
	v_cvt_off_f32_i4_sdwa v54, v55 dst_sel:DWORD dst_unused:UNUSED_PRESERVE src0_sel:BYTE_3// 000000007E5C: 7E6C1CF9 00031637
	v_cvt_pk_fp8_f32 v57, v53, v54 op_sel:[0,0,1]              // 000000007E64: D2A24039 00026D35
	v_accvgpr_write_b32 a10, v56                               // 000000007E6C: D3D9400A 18000138
	v_accvgpr_write_b32 a11, v57                               // 000000007E74: D3D9400B 18000139
	s_nop 3                                                    // 000000007E7C: BF800003
	v_mfma_f32_16x16x32_fp8_fp8 v[128:131], a[10:11], v[234:235], v[128:131]// 000000007E80: D3F30080 0E03D50A
	v_accvgpr_read_b32 v52, a70                                // 000000007E88: D3D84034 18000146
	v_cvt_off_f32_i4_e32 v53, v52                              // 000000007E90: 7E6A1D34
	v_cvt_off_f32_i4_sdwa v54, v52 dst_sel:DWORD dst_unused:UNUSED_PRESERVE src0_sel:BYTE_2// 000000007E94: 7E6C1CF9 00021634
	v_cvt_pk_fp8_f32 v56, v53, v54                             // 000000007E9C: D2A20038 00026D35
	v_cvt_off_f32_i4_sdwa v53, v52 dst_sel:DWORD dst_unused:UNUSED_PRESERVE src0_sel:BYTE_1// 000000007EA4: 7E6A1CF9 00011634
	v_cvt_off_f32_i4_sdwa v54, v52 dst_sel:DWORD dst_unused:UNUSED_PRESERVE src0_sel:BYTE_3// 000000007EAC: 7E6C1CF9 00031634
	v_cvt_pk_fp8_f32 v57, v53, v54                             // 000000007EB4: D2A20039 00026D35
	v_lshrrev_b32_e32 v55, 4, v52                              // 000000007EBC: 206E6884
	v_cvt_off_f32_i4_e32 v53, v55                              // 000000007EC0: 7E6A1D37
	v_cvt_off_f32_i4_sdwa v54, v55 dst_sel:DWORD dst_unused:UNUSED_PRESERVE src0_sel:BYTE_2// 000000007EC4: 7E6C1CF9 00021637
	v_cvt_pk_fp8_f32 v56, v53, v54 op_sel:[0,0,1]              // 000000007ECC: D2A24038 00026D35
	v_cvt_off_f32_i4_sdwa v53, v55 dst_sel:DWORD dst_unused:UNUSED_PRESERVE src0_sel:BYTE_1// 000000007ED4: 7E6A1CF9 00011637
	v_cvt_off_f32_i4_sdwa v54, v55 dst_sel:DWORD dst_unused:UNUSED_PRESERVE src0_sel:BYTE_3// 000000007EDC: 7E6C1CF9 00031637
	v_cvt_pk_fp8_f32 v57, v53, v54 op_sel:[0,0,1]              // 000000007EE4: D2A24039 00026D35
	v_accvgpr_write_b32 a12, v56                               // 000000007EEC: D3D9400C 18000138
	v_accvgpr_write_b32 a13, v57                               // 000000007EF4: D3D9400D 18000139
	s_nop 3                                                    // 000000007EFC: BF800003
	v_mfma_f32_16x16x32_fp8_fp8 v[128:131], a[12:13], v[236:237], v[128:131]// 000000007F00: D3F30080 0E03D90C
	v_accvgpr_read_b32 v52, a71                                // 000000007F08: D3D84034 18000147
	v_cvt_off_f32_i4_e32 v53, v52                              // 000000007F10: 7E6A1D34
	v_cvt_off_f32_i4_sdwa v54, v52 dst_sel:DWORD dst_unused:UNUSED_PRESERVE src0_sel:BYTE_2// 000000007F14: 7E6C1CF9 00021634
	v_cvt_pk_fp8_f32 v56, v53, v54                             // 000000007F1C: D2A20038 00026D35
	v_cvt_off_f32_i4_sdwa v53, v52 dst_sel:DWORD dst_unused:UNUSED_PRESERVE src0_sel:BYTE_1// 000000007F24: 7E6A1CF9 00011634
	v_cvt_off_f32_i4_sdwa v54, v52 dst_sel:DWORD dst_unused:UNUSED_PRESERVE src0_sel:BYTE_3// 000000007F2C: 7E6C1CF9 00031634
	v_cvt_pk_fp8_f32 v57, v53, v54                             // 000000007F34: D2A20039 00026D35
	v_lshrrev_b32_e32 v55, 4, v52                              // 000000007F3C: 206E6884
	v_cvt_off_f32_i4_e32 v53, v55                              // 000000007F40: 7E6A1D37
	v_cvt_off_f32_i4_sdwa v54, v55 dst_sel:DWORD dst_unused:UNUSED_PRESERVE src0_sel:BYTE_2// 000000007F44: 7E6C1CF9 00021637
	v_cvt_pk_fp8_f32 v56, v53, v54 op_sel:[0,0,1]              // 000000007F4C: D2A24038 00026D35
	v_cvt_off_f32_i4_sdwa v53, v55 dst_sel:DWORD dst_unused:UNUSED_PRESERVE src0_sel:BYTE_1// 000000007F54: 7E6A1CF9 00011637
	v_cvt_off_f32_i4_sdwa v54, v55 dst_sel:DWORD dst_unused:UNUSED_PRESERVE src0_sel:BYTE_3// 000000007F5C: 7E6C1CF9 00031637
	v_cvt_pk_fp8_f32 v57, v53, v54 op_sel:[0,0,1]              // 000000007F64: D2A24039 00026D35
	v_accvgpr_write_b32 a14, v56                               // 000000007F6C: D3D9400E 18000138
	v_accvgpr_write_b32 a15, v57                               // 000000007F74: D3D9400F 18000139
	s_nop 3                                                    // 000000007F7C: BF800003
	v_mfma_f32_16x16x32_fp8_fp8 v[128:131], a[14:15], v[238:239], v[128:131]// 000000007F80: D3F30080 0E03DD0E
	buffer_load_dword v27, s[20:23], 0 offen lds               // 000000007F88: E0511000 8005001B
	s_add_u32 m0, 0x200, s50                                   // 000000007F90: 807C32FF 00000200
	v_mfma_f32_16x16x32_fp8_fp8 v[132:135], a[0:1], v[240:241], v[132:135]// 000000007F98: D3F30084 0E13E100
	v_mfma_f32_16x16x32_fp8_fp8 v[132:135], a[2:3], v[242:243], v[132:135]// 000000007FA0: D3F30084 0E13E502
	buffer_load_dwordx4 a[196:199], v34, s[92:95], 0 offen offset:1024// 000000007FA8: E05C1400 8097C422
	v_mfma_f32_16x16x32_fp8_fp8 v[132:135], a[4:5], v[244:245], v[132:135]// 000000007FB0: D3F30084 0E13E904
	v_mfma_f32_16x16x32_fp8_fp8 v[132:135], a[6:7], v[246:247], v[132:135]// 000000007FB8: D3F30084 0E13ED06
	buffer_load_dword v28, s[20:23], 0 offen lds               // 000000007FC0: E0511000 8005001C
	s_add_u32 m0, 0x300, s50                                   // 000000007FC8: 807C32FF 00000300
	v_mfma_f32_16x16x32_fp8_fp8 v[132:135], a[8:9], v[248:249], v[132:135]// 000000007FD0: D3F30084 0E13F108
	v_mfma_f32_16x16x32_fp8_fp8 v[132:135], a[10:11], v[250:251], v[132:135]// 000000007FD8: D3F30084 0E13F50A
	v_mfma_f32_16x16x32_fp8_fp8 v[132:135], a[12:13], v[252:253], v[132:135]// 000000007FE0: D3F30084 0E13F90C
	v_mfma_f32_16x16x32_fp8_fp8 v[132:135], a[14:15], v[254:255], v[132:135]// 000000007FE8: D3F30084 0E13FD0E
	buffer_load_dword v29, s[20:23], 0 offen lds               // 000000007FF0: E0511000 8005001D
	s_add_u32 m0, 0x400, s50                                   // 000000007FF8: 807C32FF 00000400
	v_accvgpr_read_b32 v52, a72                                // 000000008000: D3D84034 18000148
	v_cvt_off_f32_i4_e32 v53, v52                              // 000000008008: 7E6A1D34
	v_cvt_off_f32_i4_sdwa v54, v52 dst_sel:DWORD dst_unused:UNUSED_PRESERVE src0_sel:BYTE_2// 00000000800C: 7E6C1CF9 00021634
	v_cvt_pk_fp8_f32 v56, v53, v54                             // 000000008014: D2A20038 00026D35
	v_cvt_off_f32_i4_sdwa v53, v52 dst_sel:DWORD dst_unused:UNUSED_PRESERVE src0_sel:BYTE_1// 00000000801C: 7E6A1CF9 00011634
	v_cvt_off_f32_i4_sdwa v54, v52 dst_sel:DWORD dst_unused:UNUSED_PRESERVE src0_sel:BYTE_3// 000000008024: 7E6C1CF9 00031634
	v_cvt_pk_fp8_f32 v57, v53, v54                             // 00000000802C: D2A20039 00026D35
	v_lshrrev_b32_e32 v55, 4, v52                              // 000000008034: 206E6884
	v_cvt_off_f32_i4_e32 v53, v55                              // 000000008038: 7E6A1D37
	v_cvt_off_f32_i4_sdwa v54, v55 dst_sel:DWORD dst_unused:UNUSED_PRESERVE src0_sel:BYTE_2// 00000000803C: 7E6C1CF9 00021637
	v_cvt_pk_fp8_f32 v56, v53, v54 op_sel:[0,0,1]              // 000000008044: D2A24038 00026D35
	v_cvt_off_f32_i4_sdwa v53, v55 dst_sel:DWORD dst_unused:UNUSED_PRESERVE src0_sel:BYTE_1// 00000000804C: 7E6A1CF9 00011637
	v_cvt_off_f32_i4_sdwa v54, v55 dst_sel:DWORD dst_unused:UNUSED_PRESERVE src0_sel:BYTE_3// 000000008054: 7E6C1CF9 00031637
	v_cvt_pk_fp8_f32 v57, v53, v54 op_sel:[0,0,1]              // 00000000805C: D2A24039 00026D35
	v_accvgpr_write_b32 a16, v56                               // 000000008064: D3D94010 18000138
	v_accvgpr_write_b32 a17, v57                               // 00000000806C: D3D94011 18000139
	s_nop 3                                                    // 000000008074: BF800003
	v_mfma_f32_16x16x32_fp8_fp8 v[136:139], a[16:17], v[224:225], v[136:139]// 000000008078: D3F30088 0E23C110
	v_accvgpr_read_b32 v52, a73                                // 000000008080: D3D84034 18000149
	v_cvt_off_f32_i4_e32 v53, v52                              // 000000008088: 7E6A1D34
	v_cvt_off_f32_i4_sdwa v54, v52 dst_sel:DWORD dst_unused:UNUSED_PRESERVE src0_sel:BYTE_2// 00000000808C: 7E6C1CF9 00021634
	v_cvt_pk_fp8_f32 v56, v53, v54                             // 000000008094: D2A20038 00026D35
	v_cvt_off_f32_i4_sdwa v53, v52 dst_sel:DWORD dst_unused:UNUSED_PRESERVE src0_sel:BYTE_1// 00000000809C: 7E6A1CF9 00011634
	v_cvt_off_f32_i4_sdwa v54, v52 dst_sel:DWORD dst_unused:UNUSED_PRESERVE src0_sel:BYTE_3// 0000000080A4: 7E6C1CF9 00031634
	v_cvt_pk_fp8_f32 v57, v53, v54                             // 0000000080AC: D2A20039 00026D35
	v_lshrrev_b32_e32 v55, 4, v52                              // 0000000080B4: 206E6884
	v_cvt_off_f32_i4_e32 v53, v55                              // 0000000080B8: 7E6A1D37
	v_cvt_off_f32_i4_sdwa v54, v55 dst_sel:DWORD dst_unused:UNUSED_PRESERVE src0_sel:BYTE_2// 0000000080BC: 7E6C1CF9 00021637
	v_cvt_pk_fp8_f32 v56, v53, v54 op_sel:[0,0,1]              // 0000000080C4: D2A24038 00026D35
	v_cvt_off_f32_i4_sdwa v53, v55 dst_sel:DWORD dst_unused:UNUSED_PRESERVE src0_sel:BYTE_1// 0000000080CC: 7E6A1CF9 00011637
	v_cvt_off_f32_i4_sdwa v54, v55 dst_sel:DWORD dst_unused:UNUSED_PRESERVE src0_sel:BYTE_3// 0000000080D4: 7E6C1CF9 00031637
	v_cvt_pk_fp8_f32 v57, v53, v54 op_sel:[0,0,1]              // 0000000080DC: D2A24039 00026D35
	v_accvgpr_write_b32 a18, v56                               // 0000000080E4: D3D94012 18000138
	v_accvgpr_write_b32 a19, v57                               // 0000000080EC: D3D94013 18000139
	s_nop 3                                                    // 0000000080F4: BF800003
	v_mfma_f32_16x16x32_fp8_fp8 v[136:139], a[18:19], v[226:227], v[136:139]// 0000000080F8: D3F30088 0E23C512
	buffer_load_dwordx4 a[200:203], v35, s[92:95], 0 offen     // 000000008100: E05C1000 8097C823
	v_accvgpr_read_b32 v52, a74                                // 000000008108: D3D84034 1800014A
	v_cvt_off_f32_i4_e32 v53, v52                              // 000000008110: 7E6A1D34
	v_cvt_off_f32_i4_sdwa v54, v52 dst_sel:DWORD dst_unused:UNUSED_PRESERVE src0_sel:BYTE_2// 000000008114: 7E6C1CF9 00021634
	v_cvt_pk_fp8_f32 v56, v53, v54                             // 00000000811C: D2A20038 00026D35
	v_cvt_off_f32_i4_sdwa v53, v52 dst_sel:DWORD dst_unused:UNUSED_PRESERVE src0_sel:BYTE_1// 000000008124: 7E6A1CF9 00011634
	v_cvt_off_f32_i4_sdwa v54, v52 dst_sel:DWORD dst_unused:UNUSED_PRESERVE src0_sel:BYTE_3// 00000000812C: 7E6C1CF9 00031634
	v_cvt_pk_fp8_f32 v57, v53, v54                             // 000000008134: D2A20039 00026D35
	v_lshrrev_b32_e32 v55, 4, v52                              // 00000000813C: 206E6884
	v_cvt_off_f32_i4_e32 v53, v55                              // 000000008140: 7E6A1D37
	v_cvt_off_f32_i4_sdwa v54, v55 dst_sel:DWORD dst_unused:UNUSED_PRESERVE src0_sel:BYTE_2// 000000008144: 7E6C1CF9 00021637
	v_cvt_pk_fp8_f32 v56, v53, v54 op_sel:[0,0,1]              // 00000000814C: D2A24038 00026D35
	v_cvt_off_f32_i4_sdwa v53, v55 dst_sel:DWORD dst_unused:UNUSED_PRESERVE src0_sel:BYTE_1// 000000008154: 7E6A1CF9 00011637
	v_cvt_off_f32_i4_sdwa v54, v55 dst_sel:DWORD dst_unused:UNUSED_PRESERVE src0_sel:BYTE_3// 00000000815C: 7E6C1CF9 00031637
	v_cvt_pk_fp8_f32 v57, v53, v54 op_sel:[0,0,1]              // 000000008164: D2A24039 00026D35
	v_accvgpr_write_b32 a20, v56                               // 00000000816C: D3D94014 18000138
	v_accvgpr_write_b32 a21, v57                               // 000000008174: D3D94015 18000139
	s_nop 3                                                    // 00000000817C: BF800003
	v_mfma_f32_16x16x32_fp8_fp8 v[136:139], a[20:21], v[228:229], v[136:139]// 000000008180: D3F30088 0E23C914
	v_accvgpr_read_b32 v52, a75                                // 000000008188: D3D84034 1800014B
	v_cvt_off_f32_i4_e32 v53, v52                              // 000000008190: 7E6A1D34
	v_cvt_off_f32_i4_sdwa v54, v52 dst_sel:DWORD dst_unused:UNUSED_PRESERVE src0_sel:BYTE_2// 000000008194: 7E6C1CF9 00021634
	v_cvt_pk_fp8_f32 v56, v53, v54                             // 00000000819C: D2A20038 00026D35
	v_cvt_off_f32_i4_sdwa v53, v52 dst_sel:DWORD dst_unused:UNUSED_PRESERVE src0_sel:BYTE_1// 0000000081A4: 7E6A1CF9 00011634
	v_cvt_off_f32_i4_sdwa v54, v52 dst_sel:DWORD dst_unused:UNUSED_PRESERVE src0_sel:BYTE_3// 0000000081AC: 7E6C1CF9 00031634
	v_cvt_pk_fp8_f32 v57, v53, v54                             // 0000000081B4: D2A20039 00026D35
	v_lshrrev_b32_e32 v55, 4, v52                              // 0000000081BC: 206E6884
	v_cvt_off_f32_i4_e32 v53, v55                              // 0000000081C0: 7E6A1D37
	v_cvt_off_f32_i4_sdwa v54, v55 dst_sel:DWORD dst_unused:UNUSED_PRESERVE src0_sel:BYTE_2// 0000000081C4: 7E6C1CF9 00021637
	v_cvt_pk_fp8_f32 v56, v53, v54 op_sel:[0,0,1]              // 0000000081CC: D2A24038 00026D35
	v_cvt_off_f32_i4_sdwa v53, v55 dst_sel:DWORD dst_unused:UNUSED_PRESERVE src0_sel:BYTE_1// 0000000081D4: 7E6A1CF9 00011637
	v_cvt_off_f32_i4_sdwa v54, v55 dst_sel:DWORD dst_unused:UNUSED_PRESERVE src0_sel:BYTE_3// 0000000081DC: 7E6C1CF9 00031637
	v_cvt_pk_fp8_f32 v57, v53, v54 op_sel:[0,0,1]              // 0000000081E4: D2A24039 00026D35
	v_accvgpr_write_b32 a22, v56                               // 0000000081EC: D3D94016 18000138
	v_accvgpr_write_b32 a23, v57                               // 0000000081F4: D3D94017 18000139
	s_nop 3                                                    // 0000000081FC: BF800003
	v_mfma_f32_16x16x32_fp8_fp8 v[136:139], a[22:23], v[230:231], v[136:139]// 000000008200: D3F30088 0E23CD16
	buffer_load_dword v30, s[20:23], 0 offen lds               // 000000008208: E0511000 8005001E
	s_add_u32 m0, 0x500, s50                                   // 000000008210: 807C32FF 00000500
	v_accvgpr_read_b32 v52, a76                                // 000000008218: D3D84034 1800014C
	v_cvt_off_f32_i4_e32 v53, v52                              // 000000008220: 7E6A1D34
	v_cvt_off_f32_i4_sdwa v54, v52 dst_sel:DWORD dst_unused:UNUSED_PRESERVE src0_sel:BYTE_2// 000000008224: 7E6C1CF9 00021634
	v_cvt_pk_fp8_f32 v56, v53, v54                             // 00000000822C: D2A20038 00026D35
	v_cvt_off_f32_i4_sdwa v53, v52 dst_sel:DWORD dst_unused:UNUSED_PRESERVE src0_sel:BYTE_1// 000000008234: 7E6A1CF9 00011634
	v_cvt_off_f32_i4_sdwa v54, v52 dst_sel:DWORD dst_unused:UNUSED_PRESERVE src0_sel:BYTE_3// 00000000823C: 7E6C1CF9 00031634
	v_cvt_pk_fp8_f32 v57, v53, v54                             // 000000008244: D2A20039 00026D35
	v_lshrrev_b32_e32 v55, 4, v52                              // 00000000824C: 206E6884
	v_cvt_off_f32_i4_e32 v53, v55                              // 000000008250: 7E6A1D37
	v_cvt_off_f32_i4_sdwa v54, v55 dst_sel:DWORD dst_unused:UNUSED_PRESERVE src0_sel:BYTE_2// 000000008254: 7E6C1CF9 00021637
	v_cvt_pk_fp8_f32 v56, v53, v54 op_sel:[0,0,1]              // 00000000825C: D2A24038 00026D35
	v_cvt_off_f32_i4_sdwa v53, v55 dst_sel:DWORD dst_unused:UNUSED_PRESERVE src0_sel:BYTE_1// 000000008264: 7E6A1CF9 00011637
	v_cvt_off_f32_i4_sdwa v54, v55 dst_sel:DWORD dst_unused:UNUSED_PRESERVE src0_sel:BYTE_3// 00000000826C: 7E6C1CF9 00031637
	v_cvt_pk_fp8_f32 v57, v53, v54 op_sel:[0,0,1]              // 000000008274: D2A24039 00026D35
	v_accvgpr_write_b32 a24, v56                               // 00000000827C: D3D94018 18000138
	v_accvgpr_write_b32 a25, v57                               // 000000008284: D3D94019 18000139
	s_nop 3                                                    // 00000000828C: BF800003
	v_mfma_f32_16x16x32_fp8_fp8 v[136:139], a[24:25], v[232:233], v[136:139]// 000000008290: D3F30088 0E23D118
	v_accvgpr_read_b32 v52, a77                                // 000000008298: D3D84034 1800014D
	v_cvt_off_f32_i4_e32 v53, v52                              // 0000000082A0: 7E6A1D34
	v_cvt_off_f32_i4_sdwa v54, v52 dst_sel:DWORD dst_unused:UNUSED_PRESERVE src0_sel:BYTE_2// 0000000082A4: 7E6C1CF9 00021634
	v_cvt_pk_fp8_f32 v56, v53, v54                             // 0000000082AC: D2A20038 00026D35
	v_cvt_off_f32_i4_sdwa v53, v52 dst_sel:DWORD dst_unused:UNUSED_PRESERVE src0_sel:BYTE_1// 0000000082B4: 7E6A1CF9 00011634
	v_cvt_off_f32_i4_sdwa v54, v52 dst_sel:DWORD dst_unused:UNUSED_PRESERVE src0_sel:BYTE_3// 0000000082BC: 7E6C1CF9 00031634
	v_cvt_pk_fp8_f32 v57, v53, v54                             // 0000000082C4: D2A20039 00026D35
	v_lshrrev_b32_e32 v55, 4, v52                              // 0000000082CC: 206E6884
	v_cvt_off_f32_i4_e32 v53, v55                              // 0000000082D0: 7E6A1D37
	v_cvt_off_f32_i4_sdwa v54, v55 dst_sel:DWORD dst_unused:UNUSED_PRESERVE src0_sel:BYTE_2// 0000000082D4: 7E6C1CF9 00021637
	v_cvt_pk_fp8_f32 v56, v53, v54 op_sel:[0,0,1]              // 0000000082DC: D2A24038 00026D35
	v_cvt_off_f32_i4_sdwa v53, v55 dst_sel:DWORD dst_unused:UNUSED_PRESERVE src0_sel:BYTE_1// 0000000082E4: 7E6A1CF9 00011637
	v_cvt_off_f32_i4_sdwa v54, v55 dst_sel:DWORD dst_unused:UNUSED_PRESERVE src0_sel:BYTE_3// 0000000082EC: 7E6C1CF9 00031637
	v_cvt_pk_fp8_f32 v57, v53, v54 op_sel:[0,0,1]              // 0000000082F4: D2A24039 00026D35
	v_accvgpr_write_b32 a26, v56                               // 0000000082FC: D3D9401A 18000138
	v_accvgpr_write_b32 a27, v57                               // 000000008304: D3D9401B 18000139
	s_nop 3                                                    // 00000000830C: BF800003
	v_mfma_f32_16x16x32_fp8_fp8 v[136:139], a[26:27], v[234:235], v[136:139]// 000000008310: D3F30088 0E23D51A
	v_accvgpr_read_b32 v52, a78                                // 000000008318: D3D84034 1800014E
	v_cvt_off_f32_i4_e32 v53, v52                              // 000000008320: 7E6A1D34
	v_cvt_off_f32_i4_sdwa v54, v52 dst_sel:DWORD dst_unused:UNUSED_PRESERVE src0_sel:BYTE_2// 000000008324: 7E6C1CF9 00021634
	v_cvt_pk_fp8_f32 v56, v53, v54                             // 00000000832C: D2A20038 00026D35
	v_cvt_off_f32_i4_sdwa v53, v52 dst_sel:DWORD dst_unused:UNUSED_PRESERVE src0_sel:BYTE_1// 000000008334: 7E6A1CF9 00011634
	v_cvt_off_f32_i4_sdwa v54, v52 dst_sel:DWORD dst_unused:UNUSED_PRESERVE src0_sel:BYTE_3// 00000000833C: 7E6C1CF9 00031634
	v_cvt_pk_fp8_f32 v57, v53, v54                             // 000000008344: D2A20039 00026D35
	v_lshrrev_b32_e32 v55, 4, v52                              // 00000000834C: 206E6884
	v_cvt_off_f32_i4_e32 v53, v55                              // 000000008350: 7E6A1D37
	v_cvt_off_f32_i4_sdwa v54, v55 dst_sel:DWORD dst_unused:UNUSED_PRESERVE src0_sel:BYTE_2// 000000008354: 7E6C1CF9 00021637
	v_cvt_pk_fp8_f32 v56, v53, v54 op_sel:[0,0,1]              // 00000000835C: D2A24038 00026D35
	v_cvt_off_f32_i4_sdwa v53, v55 dst_sel:DWORD dst_unused:UNUSED_PRESERVE src0_sel:BYTE_1// 000000008364: 7E6A1CF9 00011637
	v_cvt_off_f32_i4_sdwa v54, v55 dst_sel:DWORD dst_unused:UNUSED_PRESERVE src0_sel:BYTE_3// 00000000836C: 7E6C1CF9 00031637
	v_cvt_pk_fp8_f32 v57, v53, v54 op_sel:[0,0,1]              // 000000008374: D2A24039 00026D35
	v_accvgpr_write_b32 a28, v56                               // 00000000837C: D3D9401C 18000138
	v_accvgpr_write_b32 a29, v57                               // 000000008384: D3D9401D 18000139
	s_nop 3                                                    // 00000000838C: BF800003
	v_mfma_f32_16x16x32_fp8_fp8 v[136:139], a[28:29], v[236:237], v[136:139]// 000000008390: D3F30088 0E23D91C
	v_accvgpr_read_b32 v52, a79                                // 000000008398: D3D84034 1800014F
	v_cvt_off_f32_i4_e32 v53, v52                              // 0000000083A0: 7E6A1D34
	v_cvt_off_f32_i4_sdwa v54, v52 dst_sel:DWORD dst_unused:UNUSED_PRESERVE src0_sel:BYTE_2// 0000000083A4: 7E6C1CF9 00021634
	v_cvt_pk_fp8_f32 v56, v53, v54                             // 0000000083AC: D2A20038 00026D35
	v_cvt_off_f32_i4_sdwa v53, v52 dst_sel:DWORD dst_unused:UNUSED_PRESERVE src0_sel:BYTE_1// 0000000083B4: 7E6A1CF9 00011634
	v_cvt_off_f32_i4_sdwa v54, v52 dst_sel:DWORD dst_unused:UNUSED_PRESERVE src0_sel:BYTE_3// 0000000083BC: 7E6C1CF9 00031634
	v_cvt_pk_fp8_f32 v57, v53, v54                             // 0000000083C4: D2A20039 00026D35
	v_lshrrev_b32_e32 v55, 4, v52                              // 0000000083CC: 206E6884
	v_cvt_off_f32_i4_e32 v53, v55                              // 0000000083D0: 7E6A1D37
	v_cvt_off_f32_i4_sdwa v54, v55 dst_sel:DWORD dst_unused:UNUSED_PRESERVE src0_sel:BYTE_2// 0000000083D4: 7E6C1CF9 00021637
	v_cvt_pk_fp8_f32 v56, v53, v54 op_sel:[0,0,1]              // 0000000083DC: D2A24038 00026D35
	v_cvt_off_f32_i4_sdwa v53, v55 dst_sel:DWORD dst_unused:UNUSED_PRESERVE src0_sel:BYTE_1// 0000000083E4: 7E6A1CF9 00011637
	v_cvt_off_f32_i4_sdwa v54, v55 dst_sel:DWORD dst_unused:UNUSED_PRESERVE src0_sel:BYTE_3// 0000000083EC: 7E6C1CF9 00031637
	v_cvt_pk_fp8_f32 v57, v53, v54 op_sel:[0,0,1]              // 0000000083F4: D2A24039 00026D35
	v_accvgpr_write_b32 a30, v56                               // 0000000083FC: D3D9401E 18000138
	v_accvgpr_write_b32 a31, v57                               // 000000008404: D3D9401F 18000139
	s_nop 3                                                    // 00000000840C: BF800003
	v_mfma_f32_16x16x32_fp8_fp8 v[136:139], a[30:31], v[238:239], v[136:139]// 000000008410: D3F30088 0E23DD1E
	buffer_load_dword v31, s[20:23], 0 offen lds               // 000000008418: E0511000 8005001F
	s_add_u32 m0, 0x600, s50                                   // 000000008420: 807C32FF 00000600
	v_mfma_f32_16x16x32_fp8_fp8 v[140:143], a[16:17], v[240:241], v[140:143]// 000000008428: D3F3008C 0E33E110
	v_mfma_f32_16x16x32_fp8_fp8 v[140:143], a[18:19], v[242:243], v[140:143]// 000000008430: D3F3008C 0E33E512
	buffer_load_dwordx4 a[204:207], v35, s[92:95], 0 offen offset:1024// 000000008438: E05C1400 8097CC23
	v_mfma_f32_16x16x32_fp8_fp8 v[140:143], a[20:21], v[244:245], v[140:143]// 000000008440: D3F3008C 0E33E914
	v_mfma_f32_16x16x32_fp8_fp8 v[140:143], a[22:23], v[246:247], v[140:143]// 000000008448: D3F3008C 0E33ED16
	buffer_load_dword v32, s[20:23], 0 offen lds               // 000000008450: E0511000 80050020
	s_add_u32 m0, 0x700, s50                                   // 000000008458: 807C32FF 00000700
	v_mfma_f32_16x16x32_fp8_fp8 v[140:143], a[24:25], v[248:249], v[140:143]// 000000008460: D3F3008C 0E33F118
	v_mfma_f32_16x16x32_fp8_fp8 v[140:143], a[26:27], v[250:251], v[140:143]// 000000008468: D3F3008C 0E33F51A
	v_mfma_f32_16x16x32_fp8_fp8 v[140:143], a[28:29], v[252:253], v[140:143]// 000000008470: D3F3008C 0E33F91C
	v_mfma_f32_16x16x32_fp8_fp8 v[140:143], a[30:31], v[254:255], v[140:143]// 000000008478: D3F3008C 0E33FD1E
	buffer_load_dword v33, s[20:23], 0 offen lds               // 000000008480: E0511000 80050021
	s_add_u32 m0, 0, s51                                       // 000000008488: 807C3380
	s_waitcnt vmcnt(22)                                        // 00000000848C: BF8C4F76
	v_accvgpr_read_b32 v52, a80                                // 000000008490: D3D84034 18000150
	v_cvt_off_f32_i4_e32 v53, v52                              // 000000008498: 7E6A1D34
	v_cvt_off_f32_i4_sdwa v54, v52 dst_sel:DWORD dst_unused:UNUSED_PRESERVE src0_sel:BYTE_2// 00000000849C: 7E6C1CF9 00021634
	v_cvt_pk_fp8_f32 v56, v53, v54                             // 0000000084A4: D2A20038 00026D35
	v_cvt_off_f32_i4_sdwa v53, v52 dst_sel:DWORD dst_unused:UNUSED_PRESERVE src0_sel:BYTE_1// 0000000084AC: 7E6A1CF9 00011634
	v_cvt_off_f32_i4_sdwa v54, v52 dst_sel:DWORD dst_unused:UNUSED_PRESERVE src0_sel:BYTE_3// 0000000084B4: 7E6C1CF9 00031634
	v_cvt_pk_fp8_f32 v57, v53, v54                             // 0000000084BC: D2A20039 00026D35
	v_lshrrev_b32_e32 v55, 4, v52                              // 0000000084C4: 206E6884
	v_cvt_off_f32_i4_e32 v53, v55                              // 0000000084C8: 7E6A1D37
	v_cvt_off_f32_i4_sdwa v54, v55 dst_sel:DWORD dst_unused:UNUSED_PRESERVE src0_sel:BYTE_2// 0000000084CC: 7E6C1CF9 00021637
	v_cvt_pk_fp8_f32 v56, v53, v54 op_sel:[0,0,1]              // 0000000084D4: D2A24038 00026D35
	v_cvt_off_f32_i4_sdwa v53, v55 dst_sel:DWORD dst_unused:UNUSED_PRESERVE src0_sel:BYTE_1// 0000000084DC: 7E6A1CF9 00011637
	v_cvt_off_f32_i4_sdwa v54, v55 dst_sel:DWORD dst_unused:UNUSED_PRESERVE src0_sel:BYTE_3// 0000000084E4: 7E6C1CF9 00031637
	v_cvt_pk_fp8_f32 v57, v53, v54 op_sel:[0,0,1]              // 0000000084EC: D2A24039 00026D35
	v_accvgpr_write_b32 a32, v56                               // 0000000084F4: D3D94020 18000138
	v_accvgpr_write_b32 a33, v57                               // 0000000084FC: D3D94021 18000139
	s_nop 3                                                    // 000000008504: BF800003
	v_mfma_f32_16x16x32_fp8_fp8 v[144:147], a[32:33], v[224:225], v[144:147]// 000000008508: D3F30090 0E43C120
	v_accvgpr_read_b32 v52, a81                                // 000000008510: D3D84034 18000151
	v_cvt_off_f32_i4_e32 v53, v52                              // 000000008518: 7E6A1D34
	v_cvt_off_f32_i4_sdwa v54, v52 dst_sel:DWORD dst_unused:UNUSED_PRESERVE src0_sel:BYTE_2// 00000000851C: 7E6C1CF9 00021634
	v_cvt_pk_fp8_f32 v56, v53, v54                             // 000000008524: D2A20038 00026D35
	v_cvt_off_f32_i4_sdwa v53, v52 dst_sel:DWORD dst_unused:UNUSED_PRESERVE src0_sel:BYTE_1// 00000000852C: 7E6A1CF9 00011634
	v_cvt_off_f32_i4_sdwa v54, v52 dst_sel:DWORD dst_unused:UNUSED_PRESERVE src0_sel:BYTE_3// 000000008534: 7E6C1CF9 00031634
	v_cvt_pk_fp8_f32 v57, v53, v54                             // 00000000853C: D2A20039 00026D35
	v_lshrrev_b32_e32 v55, 4, v52                              // 000000008544: 206E6884
	v_cvt_off_f32_i4_e32 v53, v55                              // 000000008548: 7E6A1D37
	v_cvt_off_f32_i4_sdwa v54, v55 dst_sel:DWORD dst_unused:UNUSED_PRESERVE src0_sel:BYTE_2// 00000000854C: 7E6C1CF9 00021637
	v_cvt_pk_fp8_f32 v56, v53, v54 op_sel:[0,0,1]              // 000000008554: D2A24038 00026D35
	v_cvt_off_f32_i4_sdwa v53, v55 dst_sel:DWORD dst_unused:UNUSED_PRESERVE src0_sel:BYTE_1// 00000000855C: 7E6A1CF9 00011637
	v_cvt_off_f32_i4_sdwa v54, v55 dst_sel:DWORD dst_unused:UNUSED_PRESERVE src0_sel:BYTE_3// 000000008564: 7E6C1CF9 00031637
	v_cvt_pk_fp8_f32 v57, v53, v54 op_sel:[0,0,1]              // 00000000856C: D2A24039 00026D35
	v_accvgpr_write_b32 a34, v56                               // 000000008574: D3D94022 18000138
	v_accvgpr_write_b32 a35, v57                               // 00000000857C: D3D94023 18000139
	s_nop 3                                                    // 000000008584: BF800003
	v_mfma_f32_16x16x32_fp8_fp8 v[144:147], a[34:35], v[226:227], v[144:147]// 000000008588: D3F30090 0E43C522
	buffer_load_dwordx4 a[208:211], v36, s[92:95], 0 offen     // 000000008590: E05C1000 8097D024
	v_accvgpr_read_b32 v52, a82                                // 000000008598: D3D84034 18000152
	v_cvt_off_f32_i4_e32 v53, v52                              // 0000000085A0: 7E6A1D34
	v_cvt_off_f32_i4_sdwa v54, v52 dst_sel:DWORD dst_unused:UNUSED_PRESERVE src0_sel:BYTE_2// 0000000085A4: 7E6C1CF9 00021634
	v_cvt_pk_fp8_f32 v56, v53, v54                             // 0000000085AC: D2A20038 00026D35
	v_cvt_off_f32_i4_sdwa v53, v52 dst_sel:DWORD dst_unused:UNUSED_PRESERVE src0_sel:BYTE_1// 0000000085B4: 7E6A1CF9 00011634
	v_cvt_off_f32_i4_sdwa v54, v52 dst_sel:DWORD dst_unused:UNUSED_PRESERVE src0_sel:BYTE_3// 0000000085BC: 7E6C1CF9 00031634
	v_cvt_pk_fp8_f32 v57, v53, v54                             // 0000000085C4: D2A20039 00026D35
	v_lshrrev_b32_e32 v55, 4, v52                              // 0000000085CC: 206E6884
	v_cvt_off_f32_i4_e32 v53, v55                              // 0000000085D0: 7E6A1D37
	v_cvt_off_f32_i4_sdwa v54, v55 dst_sel:DWORD dst_unused:UNUSED_PRESERVE src0_sel:BYTE_2// 0000000085D4: 7E6C1CF9 00021637
	v_cvt_pk_fp8_f32 v56, v53, v54 op_sel:[0,0,1]              // 0000000085DC: D2A24038 00026D35
	v_cvt_off_f32_i4_sdwa v53, v55 dst_sel:DWORD dst_unused:UNUSED_PRESERVE src0_sel:BYTE_1// 0000000085E4: 7E6A1CF9 00011637
	v_cvt_off_f32_i4_sdwa v54, v55 dst_sel:DWORD dst_unused:UNUSED_PRESERVE src0_sel:BYTE_3// 0000000085EC: 7E6C1CF9 00031637
	v_cvt_pk_fp8_f32 v57, v53, v54 op_sel:[0,0,1]              // 0000000085F4: D2A24039 00026D35
	v_accvgpr_write_b32 a36, v56                               // 0000000085FC: D3D94024 18000138
	v_accvgpr_write_b32 a37, v57                               // 000000008604: D3D94025 18000139
	s_nop 3                                                    // 00000000860C: BF800003
	v_mfma_f32_16x16x32_fp8_fp8 v[144:147], a[36:37], v[228:229], v[144:147]// 000000008610: D3F30090 0E43C924
	v_accvgpr_read_b32 v52, a83                                // 000000008618: D3D84034 18000153
	v_cvt_off_f32_i4_e32 v53, v52                              // 000000008620: 7E6A1D34
	v_cvt_off_f32_i4_sdwa v54, v52 dst_sel:DWORD dst_unused:UNUSED_PRESERVE src0_sel:BYTE_2// 000000008624: 7E6C1CF9 00021634
	v_cvt_pk_fp8_f32 v56, v53, v54                             // 00000000862C: D2A20038 00026D35
	v_cvt_off_f32_i4_sdwa v53, v52 dst_sel:DWORD dst_unused:UNUSED_PRESERVE src0_sel:BYTE_1// 000000008634: 7E6A1CF9 00011634
	v_cvt_off_f32_i4_sdwa v54, v52 dst_sel:DWORD dst_unused:UNUSED_PRESERVE src0_sel:BYTE_3// 00000000863C: 7E6C1CF9 00031634
	v_cvt_pk_fp8_f32 v57, v53, v54                             // 000000008644: D2A20039 00026D35
	v_lshrrev_b32_e32 v55, 4, v52                              // 00000000864C: 206E6884
	v_cvt_off_f32_i4_e32 v53, v55                              // 000000008650: 7E6A1D37
	v_cvt_off_f32_i4_sdwa v54, v55 dst_sel:DWORD dst_unused:UNUSED_PRESERVE src0_sel:BYTE_2// 000000008654: 7E6C1CF9 00021637
	v_cvt_pk_fp8_f32 v56, v53, v54 op_sel:[0,0,1]              // 00000000865C: D2A24038 00026D35
	v_cvt_off_f32_i4_sdwa v53, v55 dst_sel:DWORD dst_unused:UNUSED_PRESERVE src0_sel:BYTE_1// 000000008664: 7E6A1CF9 00011637
	v_cvt_off_f32_i4_sdwa v54, v55 dst_sel:DWORD dst_unused:UNUSED_PRESERVE src0_sel:BYTE_3// 00000000866C: 7E6C1CF9 00031637
	v_cvt_pk_fp8_f32 v57, v53, v54 op_sel:[0,0,1]              // 000000008674: D2A24039 00026D35
	v_accvgpr_write_b32 a38, v56                               // 00000000867C: D3D94026 18000138
	v_accvgpr_write_b32 a39, v57                               // 000000008684: D3D94027 18000139
	s_nop 3                                                    // 00000000868C: BF800003
	v_mfma_f32_16x16x32_fp8_fp8 v[144:147], a[38:39], v[230:231], v[144:147]// 000000008690: D3F30090 0E43CD26
	v_accvgpr_read_b32 v52, a84                                // 000000008698: D3D84034 18000154
	v_cvt_off_f32_i4_e32 v53, v52                              // 0000000086A0: 7E6A1D34
	v_cvt_off_f32_i4_sdwa v54, v52 dst_sel:DWORD dst_unused:UNUSED_PRESERVE src0_sel:BYTE_2// 0000000086A4: 7E6C1CF9 00021634
	v_cvt_pk_fp8_f32 v56, v53, v54                             // 0000000086AC: D2A20038 00026D35
	v_cvt_off_f32_i4_sdwa v53, v52 dst_sel:DWORD dst_unused:UNUSED_PRESERVE src0_sel:BYTE_1// 0000000086B4: 7E6A1CF9 00011634
	v_cvt_off_f32_i4_sdwa v54, v52 dst_sel:DWORD dst_unused:UNUSED_PRESERVE src0_sel:BYTE_3// 0000000086BC: 7E6C1CF9 00031634
	v_cvt_pk_fp8_f32 v57, v53, v54                             // 0000000086C4: D2A20039 00026D35
	v_lshrrev_b32_e32 v55, 4, v52                              // 0000000086CC: 206E6884
	v_cvt_off_f32_i4_e32 v53, v55                              // 0000000086D0: 7E6A1D37
	v_cvt_off_f32_i4_sdwa v54, v55 dst_sel:DWORD dst_unused:UNUSED_PRESERVE src0_sel:BYTE_2// 0000000086D4: 7E6C1CF9 00021637
	v_cvt_pk_fp8_f32 v56, v53, v54 op_sel:[0,0,1]              // 0000000086DC: D2A24038 00026D35
	v_cvt_off_f32_i4_sdwa v53, v55 dst_sel:DWORD dst_unused:UNUSED_PRESERVE src0_sel:BYTE_1// 0000000086E4: 7E6A1CF9 00011637
	v_cvt_off_f32_i4_sdwa v54, v55 dst_sel:DWORD dst_unused:UNUSED_PRESERVE src0_sel:BYTE_3// 0000000086EC: 7E6C1CF9 00031637
	v_cvt_pk_fp8_f32 v57, v53, v54 op_sel:[0,0,1]              // 0000000086F4: D2A24039 00026D35
	v_accvgpr_write_b32 a40, v56                               // 0000000086FC: D3D94028 18000138
	v_accvgpr_write_b32 a41, v57                               // 000000008704: D3D94029 18000139
	s_nop 3                                                    // 00000000870C: BF800003
	v_mfma_f32_16x16x32_fp8_fp8 v[144:147], a[40:41], v[232:233], v[144:147]// 000000008710: D3F30090 0E43D128
	v_accvgpr_read_b32 v52, a85                                // 000000008718: D3D84034 18000155
	v_cvt_off_f32_i4_e32 v53, v52                              // 000000008720: 7E6A1D34
	v_cvt_off_f32_i4_sdwa v54, v52 dst_sel:DWORD dst_unused:UNUSED_PRESERVE src0_sel:BYTE_2// 000000008724: 7E6C1CF9 00021634
	v_cvt_pk_fp8_f32 v56, v53, v54                             // 00000000872C: D2A20038 00026D35
	v_cvt_off_f32_i4_sdwa v53, v52 dst_sel:DWORD dst_unused:UNUSED_PRESERVE src0_sel:BYTE_1// 000000008734: 7E6A1CF9 00011634
	v_cvt_off_f32_i4_sdwa v54, v52 dst_sel:DWORD dst_unused:UNUSED_PRESERVE src0_sel:BYTE_3// 00000000873C: 7E6C1CF9 00031634
	v_cvt_pk_fp8_f32 v57, v53, v54                             // 000000008744: D2A20039 00026D35
	v_lshrrev_b32_e32 v55, 4, v52                              // 00000000874C: 206E6884
	v_cvt_off_f32_i4_e32 v53, v55                              // 000000008750: 7E6A1D37
	v_cvt_off_f32_i4_sdwa v54, v55 dst_sel:DWORD dst_unused:UNUSED_PRESERVE src0_sel:BYTE_2// 000000008754: 7E6C1CF9 00021637
	v_cvt_pk_fp8_f32 v56, v53, v54 op_sel:[0,0,1]              // 00000000875C: D2A24038 00026D35
	v_cvt_off_f32_i4_sdwa v53, v55 dst_sel:DWORD dst_unused:UNUSED_PRESERVE src0_sel:BYTE_1// 000000008764: 7E6A1CF9 00011637
	v_cvt_off_f32_i4_sdwa v54, v55 dst_sel:DWORD dst_unused:UNUSED_PRESERVE src0_sel:BYTE_3// 00000000876C: 7E6C1CF9 00031637
	v_cvt_pk_fp8_f32 v57, v53, v54 op_sel:[0,0,1]              // 000000008774: D2A24039 00026D35
	v_accvgpr_write_b32 a42, v56                               // 00000000877C: D3D9402A 18000138
	v_accvgpr_write_b32 a43, v57                               // 000000008784: D3D9402B 18000139
	s_nop 3                                                    // 00000000878C: BF800003
	v_mfma_f32_16x16x32_fp8_fp8 v[144:147], a[42:43], v[234:235], v[144:147]// 000000008790: D3F30090 0E43D52A
	v_accvgpr_read_b32 v52, a86                                // 000000008798: D3D84034 18000156
	v_cvt_off_f32_i4_e32 v53, v52                              // 0000000087A0: 7E6A1D34
	v_cvt_off_f32_i4_sdwa v54, v52 dst_sel:DWORD dst_unused:UNUSED_PRESERVE src0_sel:BYTE_2// 0000000087A4: 7E6C1CF9 00021634
	v_cvt_pk_fp8_f32 v56, v53, v54                             // 0000000087AC: D2A20038 00026D35
	v_cvt_off_f32_i4_sdwa v53, v52 dst_sel:DWORD dst_unused:UNUSED_PRESERVE src0_sel:BYTE_1// 0000000087B4: 7E6A1CF9 00011634
	v_cvt_off_f32_i4_sdwa v54, v52 dst_sel:DWORD dst_unused:UNUSED_PRESERVE src0_sel:BYTE_3// 0000000087BC: 7E6C1CF9 00031634
	v_cvt_pk_fp8_f32 v57, v53, v54                             // 0000000087C4: D2A20039 00026D35
	v_lshrrev_b32_e32 v55, 4, v52                              // 0000000087CC: 206E6884
	v_cvt_off_f32_i4_e32 v53, v55                              // 0000000087D0: 7E6A1D37
	v_cvt_off_f32_i4_sdwa v54, v55 dst_sel:DWORD dst_unused:UNUSED_PRESERVE src0_sel:BYTE_2// 0000000087D4: 7E6C1CF9 00021637
	v_cvt_pk_fp8_f32 v56, v53, v54 op_sel:[0,0,1]              // 0000000087DC: D2A24038 00026D35
	v_cvt_off_f32_i4_sdwa v53, v55 dst_sel:DWORD dst_unused:UNUSED_PRESERVE src0_sel:BYTE_1// 0000000087E4: 7E6A1CF9 00011637
	v_cvt_off_f32_i4_sdwa v54, v55 dst_sel:DWORD dst_unused:UNUSED_PRESERVE src0_sel:BYTE_3// 0000000087EC: 7E6C1CF9 00031637
	v_cvt_pk_fp8_f32 v57, v53, v54 op_sel:[0,0,1]              // 0000000087F4: D2A24039 00026D35
	v_accvgpr_write_b32 a44, v56                               // 0000000087FC: D3D9402C 18000138
	v_accvgpr_write_b32 a45, v57                               // 000000008804: D3D9402D 18000139
	s_nop 3                                                    // 00000000880C: BF800003
	v_mfma_f32_16x16x32_fp8_fp8 v[144:147], a[44:45], v[236:237], v[144:147]// 000000008810: D3F30090 0E43D92C
	v_accvgpr_read_b32 v52, a87                                // 000000008818: D3D84034 18000157
	v_cvt_off_f32_i4_e32 v53, v52                              // 000000008820: 7E6A1D34
	v_cvt_off_f32_i4_sdwa v54, v52 dst_sel:DWORD dst_unused:UNUSED_PRESERVE src0_sel:BYTE_2// 000000008824: 7E6C1CF9 00021634
	v_cvt_pk_fp8_f32 v56, v53, v54                             // 00000000882C: D2A20038 00026D35
	v_cvt_off_f32_i4_sdwa v53, v52 dst_sel:DWORD dst_unused:UNUSED_PRESERVE src0_sel:BYTE_1// 000000008834: 7E6A1CF9 00011634
	v_cvt_off_f32_i4_sdwa v54, v52 dst_sel:DWORD dst_unused:UNUSED_PRESERVE src0_sel:BYTE_3// 00000000883C: 7E6C1CF9 00031634
	v_cvt_pk_fp8_f32 v57, v53, v54                             // 000000008844: D2A20039 00026D35
	v_lshrrev_b32_e32 v55, 4, v52                              // 00000000884C: 206E6884
	v_cvt_off_f32_i4_e32 v53, v55                              // 000000008850: 7E6A1D37
	v_cvt_off_f32_i4_sdwa v54, v55 dst_sel:DWORD dst_unused:UNUSED_PRESERVE src0_sel:BYTE_2// 000000008854: 7E6C1CF9 00021637
	v_cvt_pk_fp8_f32 v56, v53, v54 op_sel:[0,0,1]              // 00000000885C: D2A24038 00026D35
	v_cvt_off_f32_i4_sdwa v53, v55 dst_sel:DWORD dst_unused:UNUSED_PRESERVE src0_sel:BYTE_1// 000000008864: 7E6A1CF9 00011637
	v_cvt_off_f32_i4_sdwa v54, v55 dst_sel:DWORD dst_unused:UNUSED_PRESERVE src0_sel:BYTE_3// 00000000886C: 7E6C1CF9 00031637
	v_cvt_pk_fp8_f32 v57, v53, v54 op_sel:[0,0,1]              // 000000008874: D2A24039 00026D35
	v_accvgpr_write_b32 a46, v56                               // 00000000887C: D3D9402E 18000138
	v_accvgpr_write_b32 a47, v57                               // 000000008884: D3D9402F 18000139
	s_nop 3                                                    // 00000000888C: BF800003
	v_mfma_f32_16x16x32_fp8_fp8 v[144:147], a[46:47], v[238:239], v[144:147]// 000000008890: D3F30090 0E43DD2E
	v_mfma_f32_16x16x32_fp8_fp8 v[148:151], a[32:33], v[240:241], v[148:151]// 000000008898: D3F30094 0E53E120
	v_mfma_f32_16x16x32_fp8_fp8 v[148:151], a[34:35], v[242:243], v[148:151]// 0000000088A0: D3F30094 0E53E522
	buffer_load_dwordx4 a[212:215], v36, s[92:95], 0 offen offset:1024// 0000000088A8: E05C1400 8097D424
	v_mfma_f32_16x16x32_fp8_fp8 v[148:151], a[36:37], v[244:245], v[148:151]// 0000000088B0: D3F30094 0E53E924
	v_mfma_f32_16x16x32_fp8_fp8 v[148:151], a[38:39], v[246:247], v[148:151]// 0000000088B8: D3F30094 0E53ED26
	v_mfma_f32_16x16x32_fp8_fp8 v[148:151], a[40:41], v[248:249], v[148:151]// 0000000088C0: D3F30094 0E53F128
	v_mfma_f32_16x16x32_fp8_fp8 v[148:151], a[42:43], v[250:251], v[148:151]// 0000000088C8: D3F30094 0E53F52A
	v_mfma_f32_16x16x32_fp8_fp8 v[148:151], a[44:45], v[252:253], v[148:151]// 0000000088D0: D3F30094 0E53F92C
	v_mfma_f32_16x16x32_fp8_fp8 v[148:151], a[46:47], v[254:255], v[148:151]// 0000000088D8: D3F30094 0E53FD2E
	s_waitcnt vmcnt(22)                                        // 0000000088E0: BF8C4F76
	v_accvgpr_read_b32 v52, a88                                // 0000000088E4: D3D84034 18000158
	v_cvt_off_f32_i4_e32 v53, v52                              // 0000000088EC: 7E6A1D34
	v_cvt_off_f32_i4_sdwa v54, v52 dst_sel:DWORD dst_unused:UNUSED_PRESERVE src0_sel:BYTE_2// 0000000088F0: 7E6C1CF9 00021634
	v_cvt_pk_fp8_f32 v56, v53, v54                             // 0000000088F8: D2A20038 00026D35
	v_cvt_off_f32_i4_sdwa v53, v52 dst_sel:DWORD dst_unused:UNUSED_PRESERVE src0_sel:BYTE_1// 000000008900: 7E6A1CF9 00011634
	v_cvt_off_f32_i4_sdwa v54, v52 dst_sel:DWORD dst_unused:UNUSED_PRESERVE src0_sel:BYTE_3// 000000008908: 7E6C1CF9 00031634
	v_cvt_pk_fp8_f32 v57, v53, v54                             // 000000008910: D2A20039 00026D35
	v_lshrrev_b32_e32 v55, 4, v52                              // 000000008918: 206E6884
	v_cvt_off_f32_i4_e32 v53, v55                              // 00000000891C: 7E6A1D37
	v_cvt_off_f32_i4_sdwa v54, v55 dst_sel:DWORD dst_unused:UNUSED_PRESERVE src0_sel:BYTE_2// 000000008920: 7E6C1CF9 00021637
	v_cvt_pk_fp8_f32 v56, v53, v54 op_sel:[0,0,1]              // 000000008928: D2A24038 00026D35
	v_cvt_off_f32_i4_sdwa v53, v55 dst_sel:DWORD dst_unused:UNUSED_PRESERVE src0_sel:BYTE_1// 000000008930: 7E6A1CF9 00011637
	v_cvt_off_f32_i4_sdwa v54, v55 dst_sel:DWORD dst_unused:UNUSED_PRESERVE src0_sel:BYTE_3// 000000008938: 7E6C1CF9 00031637
	v_cvt_pk_fp8_f32 v57, v53, v54 op_sel:[0,0,1]              // 000000008940: D2A24039 00026D35
	v_accvgpr_write_b32 a48, v56                               // 000000008948: D3D94030 18000138
	v_accvgpr_write_b32 a49, v57                               // 000000008950: D3D94031 18000139
	s_nop 3                                                    // 000000008958: BF800003
	v_mfma_f32_16x16x32_fp8_fp8 v[152:155], a[48:49], v[224:225], v[152:155]// 00000000895C: D3F30098 0E63C130
	v_accvgpr_read_b32 v52, a89                                // 000000008964: D3D84034 18000159
	v_cvt_off_f32_i4_e32 v53, v52                              // 00000000896C: 7E6A1D34
	v_cvt_off_f32_i4_sdwa v54, v52 dst_sel:DWORD dst_unused:UNUSED_PRESERVE src0_sel:BYTE_2// 000000008970: 7E6C1CF9 00021634
	v_cvt_pk_fp8_f32 v56, v53, v54                             // 000000008978: D2A20038 00026D35
	v_cvt_off_f32_i4_sdwa v53, v52 dst_sel:DWORD dst_unused:UNUSED_PRESERVE src0_sel:BYTE_1// 000000008980: 7E6A1CF9 00011634
	v_cvt_off_f32_i4_sdwa v54, v52 dst_sel:DWORD dst_unused:UNUSED_PRESERVE src0_sel:BYTE_3// 000000008988: 7E6C1CF9 00031634
	v_cvt_pk_fp8_f32 v57, v53, v54                             // 000000008990: D2A20039 00026D35
	v_lshrrev_b32_e32 v55, 4, v52                              // 000000008998: 206E6884
	v_cvt_off_f32_i4_e32 v53, v55                              // 00000000899C: 7E6A1D37
	v_cvt_off_f32_i4_sdwa v54, v55 dst_sel:DWORD dst_unused:UNUSED_PRESERVE src0_sel:BYTE_2// 0000000089A0: 7E6C1CF9 00021637
	v_cvt_pk_fp8_f32 v56, v53, v54 op_sel:[0,0,1]              // 0000000089A8: D2A24038 00026D35
	v_cvt_off_f32_i4_sdwa v53, v55 dst_sel:DWORD dst_unused:UNUSED_PRESERVE src0_sel:BYTE_1// 0000000089B0: 7E6A1CF9 00011637
	v_cvt_off_f32_i4_sdwa v54, v55 dst_sel:DWORD dst_unused:UNUSED_PRESERVE src0_sel:BYTE_3// 0000000089B8: 7E6C1CF9 00031637
	v_cvt_pk_fp8_f32 v57, v53, v54 op_sel:[0,0,1]              // 0000000089C0: D2A24039 00026D35
	v_accvgpr_write_b32 a50, v56                               // 0000000089C8: D3D94032 18000138
	v_accvgpr_write_b32 a51, v57                               // 0000000089D0: D3D94033 18000139
	s_nop 3                                                    // 0000000089D8: BF800003
	v_mfma_f32_16x16x32_fp8_fp8 v[152:155], a[50:51], v[226:227], v[152:155]// 0000000089DC: D3F30098 0E63C532
	buffer_load_dwordx4 a[216:219], v37, s[92:95], 0 offen     // 0000000089E4: E05C1000 8097D825
	v_accvgpr_read_b32 v52, a90                                // 0000000089EC: D3D84034 1800015A
	v_cvt_off_f32_i4_e32 v53, v52                              // 0000000089F4: 7E6A1D34
	v_cvt_off_f32_i4_sdwa v54, v52 dst_sel:DWORD dst_unused:UNUSED_PRESERVE src0_sel:BYTE_2// 0000000089F8: 7E6C1CF9 00021634
	v_cvt_pk_fp8_f32 v56, v53, v54                             // 000000008A00: D2A20038 00026D35
	v_cvt_off_f32_i4_sdwa v53, v52 dst_sel:DWORD dst_unused:UNUSED_PRESERVE src0_sel:BYTE_1// 000000008A08: 7E6A1CF9 00011634
	v_cvt_off_f32_i4_sdwa v54, v52 dst_sel:DWORD dst_unused:UNUSED_PRESERVE src0_sel:BYTE_3// 000000008A10: 7E6C1CF9 00031634
	v_cvt_pk_fp8_f32 v57, v53, v54                             // 000000008A18: D2A20039 00026D35
	v_lshrrev_b32_e32 v55, 4, v52                              // 000000008A20: 206E6884
	v_cvt_off_f32_i4_e32 v53, v55                              // 000000008A24: 7E6A1D37
	v_cvt_off_f32_i4_sdwa v54, v55 dst_sel:DWORD dst_unused:UNUSED_PRESERVE src0_sel:BYTE_2// 000000008A28: 7E6C1CF9 00021637
	v_cvt_pk_fp8_f32 v56, v53, v54 op_sel:[0,0,1]              // 000000008A30: D2A24038 00026D35
	v_cvt_off_f32_i4_sdwa v53, v55 dst_sel:DWORD dst_unused:UNUSED_PRESERVE src0_sel:BYTE_1// 000000008A38: 7E6A1CF9 00011637
	v_cvt_off_f32_i4_sdwa v54, v55 dst_sel:DWORD dst_unused:UNUSED_PRESERVE src0_sel:BYTE_3// 000000008A40: 7E6C1CF9 00031637
	v_cvt_pk_fp8_f32 v57, v53, v54 op_sel:[0,0,1]              // 000000008A48: D2A24039 00026D35
	v_accvgpr_write_b32 a52, v56                               // 000000008A50: D3D94034 18000138
	v_accvgpr_write_b32 a53, v57                               // 000000008A58: D3D94035 18000139
	s_nop 3                                                    // 000000008A60: BF800003
	v_mfma_f32_16x16x32_fp8_fp8 v[152:155], a[52:53], v[228:229], v[152:155]// 000000008A64: D3F30098 0E63C934
	v_accvgpr_read_b32 v52, a91                                // 000000008A6C: D3D84034 1800015B
	v_cvt_off_f32_i4_e32 v53, v52                              // 000000008A74: 7E6A1D34
	v_cvt_off_f32_i4_sdwa v54, v52 dst_sel:DWORD dst_unused:UNUSED_PRESERVE src0_sel:BYTE_2// 000000008A78: 7E6C1CF9 00021634
	v_cvt_pk_fp8_f32 v56, v53, v54                             // 000000008A80: D2A20038 00026D35
	v_cvt_off_f32_i4_sdwa v53, v52 dst_sel:DWORD dst_unused:UNUSED_PRESERVE src0_sel:BYTE_1// 000000008A88: 7E6A1CF9 00011634
	v_cvt_off_f32_i4_sdwa v54, v52 dst_sel:DWORD dst_unused:UNUSED_PRESERVE src0_sel:BYTE_3// 000000008A90: 7E6C1CF9 00031634
	v_cvt_pk_fp8_f32 v57, v53, v54                             // 000000008A98: D2A20039 00026D35
	v_lshrrev_b32_e32 v55, 4, v52                              // 000000008AA0: 206E6884
	v_cvt_off_f32_i4_e32 v53, v55                              // 000000008AA4: 7E6A1D37
	v_cvt_off_f32_i4_sdwa v54, v55 dst_sel:DWORD dst_unused:UNUSED_PRESERVE src0_sel:BYTE_2// 000000008AA8: 7E6C1CF9 00021637
	v_cvt_pk_fp8_f32 v56, v53, v54 op_sel:[0,0,1]              // 000000008AB0: D2A24038 00026D35
	v_cvt_off_f32_i4_sdwa v53, v55 dst_sel:DWORD dst_unused:UNUSED_PRESERVE src0_sel:BYTE_1// 000000008AB8: 7E6A1CF9 00011637
	v_cvt_off_f32_i4_sdwa v54, v55 dst_sel:DWORD dst_unused:UNUSED_PRESERVE src0_sel:BYTE_3// 000000008AC0: 7E6C1CF9 00031637
	v_cvt_pk_fp8_f32 v57, v53, v54 op_sel:[0,0,1]              // 000000008AC8: D2A24039 00026D35
	v_accvgpr_write_b32 a54, v56                               // 000000008AD0: D3D94036 18000138
	v_accvgpr_write_b32 a55, v57                               // 000000008AD8: D3D94037 18000139
	s_nop 3                                                    // 000000008AE0: BF800003
	v_mfma_f32_16x16x32_fp8_fp8 v[152:155], a[54:55], v[230:231], v[152:155]// 000000008AE4: D3F30098 0E63CD36
	v_accvgpr_read_b32 v52, a92                                // 000000008AEC: D3D84034 1800015C
	v_cvt_off_f32_i4_e32 v53, v52                              // 000000008AF4: 7E6A1D34
	v_cvt_off_f32_i4_sdwa v54, v52 dst_sel:DWORD dst_unused:UNUSED_PRESERVE src0_sel:BYTE_2// 000000008AF8: 7E6C1CF9 00021634
	v_cvt_pk_fp8_f32 v56, v53, v54                             // 000000008B00: D2A20038 00026D35
	v_cvt_off_f32_i4_sdwa v53, v52 dst_sel:DWORD dst_unused:UNUSED_PRESERVE src0_sel:BYTE_1// 000000008B08: 7E6A1CF9 00011634
	v_cvt_off_f32_i4_sdwa v54, v52 dst_sel:DWORD dst_unused:UNUSED_PRESERVE src0_sel:BYTE_3// 000000008B10: 7E6C1CF9 00031634
	v_cvt_pk_fp8_f32 v57, v53, v54                             // 000000008B18: D2A20039 00026D35
	v_lshrrev_b32_e32 v55, 4, v52                              // 000000008B20: 206E6884
	v_cvt_off_f32_i4_e32 v53, v55                              // 000000008B24: 7E6A1D37
	v_cvt_off_f32_i4_sdwa v54, v55 dst_sel:DWORD dst_unused:UNUSED_PRESERVE src0_sel:BYTE_2// 000000008B28: 7E6C1CF9 00021637
	v_cvt_pk_fp8_f32 v56, v53, v54 op_sel:[0,0,1]              // 000000008B30: D2A24038 00026D35
	v_cvt_off_f32_i4_sdwa v53, v55 dst_sel:DWORD dst_unused:UNUSED_PRESERVE src0_sel:BYTE_1// 000000008B38: 7E6A1CF9 00011637
	v_cvt_off_f32_i4_sdwa v54, v55 dst_sel:DWORD dst_unused:UNUSED_PRESERVE src0_sel:BYTE_3// 000000008B40: 7E6C1CF9 00031637
	v_cvt_pk_fp8_f32 v57, v53, v54 op_sel:[0,0,1]              // 000000008B48: D2A24039 00026D35
	v_accvgpr_write_b32 a56, v56                               // 000000008B50: D3D94038 18000138
	v_accvgpr_write_b32 a57, v57                               // 000000008B58: D3D94039 18000139
	s_nop 3                                                    // 000000008B60: BF800003
	v_mfma_f32_16x16x32_fp8_fp8 v[152:155], a[56:57], v[232:233], v[152:155]// 000000008B64: D3F30098 0E63D138
	v_accvgpr_read_b32 v52, a93                                // 000000008B6C: D3D84034 1800015D
	v_cvt_off_f32_i4_e32 v53, v52                              // 000000008B74: 7E6A1D34
	v_cvt_off_f32_i4_sdwa v54, v52 dst_sel:DWORD dst_unused:UNUSED_PRESERVE src0_sel:BYTE_2// 000000008B78: 7E6C1CF9 00021634
	v_cvt_pk_fp8_f32 v56, v53, v54                             // 000000008B80: D2A20038 00026D35
	v_cvt_off_f32_i4_sdwa v53, v52 dst_sel:DWORD dst_unused:UNUSED_PRESERVE src0_sel:BYTE_1// 000000008B88: 7E6A1CF9 00011634
	v_cvt_off_f32_i4_sdwa v54, v52 dst_sel:DWORD dst_unused:UNUSED_PRESERVE src0_sel:BYTE_3// 000000008B90: 7E6C1CF9 00031634
	v_cvt_pk_fp8_f32 v57, v53, v54                             // 000000008B98: D2A20039 00026D35
	v_lshrrev_b32_e32 v55, 4, v52                              // 000000008BA0: 206E6884
	v_cvt_off_f32_i4_e32 v53, v55                              // 000000008BA4: 7E6A1D37
	v_cvt_off_f32_i4_sdwa v54, v55 dst_sel:DWORD dst_unused:UNUSED_PRESERVE src0_sel:BYTE_2// 000000008BA8: 7E6C1CF9 00021637
	v_cvt_pk_fp8_f32 v56, v53, v54 op_sel:[0,0,1]              // 000000008BB0: D2A24038 00026D35
	v_cvt_off_f32_i4_sdwa v53, v55 dst_sel:DWORD dst_unused:UNUSED_PRESERVE src0_sel:BYTE_1// 000000008BB8: 7E6A1CF9 00011637
	v_cvt_off_f32_i4_sdwa v54, v55 dst_sel:DWORD dst_unused:UNUSED_PRESERVE src0_sel:BYTE_3// 000000008BC0: 7E6C1CF9 00031637
	v_cvt_pk_fp8_f32 v57, v53, v54 op_sel:[0,0,1]              // 000000008BC8: D2A24039 00026D35
	v_accvgpr_write_b32 a58, v56                               // 000000008BD0: D3D9403A 18000138
	v_accvgpr_write_b32 a59, v57                               // 000000008BD8: D3D9403B 18000139
	s_nop 3                                                    // 000000008BE0: BF800003
	v_mfma_f32_16x16x32_fp8_fp8 v[152:155], a[58:59], v[234:235], v[152:155]// 000000008BE4: D3F30098 0E63D53A
	v_accvgpr_read_b32 v52, a94                                // 000000008BEC: D3D84034 1800015E
	v_cvt_off_f32_i4_e32 v53, v52                              // 000000008BF4: 7E6A1D34
	v_cvt_off_f32_i4_sdwa v54, v52 dst_sel:DWORD dst_unused:UNUSED_PRESERVE src0_sel:BYTE_2// 000000008BF8: 7E6C1CF9 00021634
	v_cvt_pk_fp8_f32 v56, v53, v54                             // 000000008C00: D2A20038 00026D35
	v_cvt_off_f32_i4_sdwa v53, v52 dst_sel:DWORD dst_unused:UNUSED_PRESERVE src0_sel:BYTE_1// 000000008C08: 7E6A1CF9 00011634
	v_cvt_off_f32_i4_sdwa v54, v52 dst_sel:DWORD dst_unused:UNUSED_PRESERVE src0_sel:BYTE_3// 000000008C10: 7E6C1CF9 00031634
	v_cvt_pk_fp8_f32 v57, v53, v54                             // 000000008C18: D2A20039 00026D35
	v_lshrrev_b32_e32 v55, 4, v52                              // 000000008C20: 206E6884
	v_cvt_off_f32_i4_e32 v53, v55                              // 000000008C24: 7E6A1D37
	v_cvt_off_f32_i4_sdwa v54, v55 dst_sel:DWORD dst_unused:UNUSED_PRESERVE src0_sel:BYTE_2// 000000008C28: 7E6C1CF9 00021637
	v_cvt_pk_fp8_f32 v56, v53, v54 op_sel:[0,0,1]              // 000000008C30: D2A24038 00026D35
	v_cvt_off_f32_i4_sdwa v53, v55 dst_sel:DWORD dst_unused:UNUSED_PRESERVE src0_sel:BYTE_1// 000000008C38: 7E6A1CF9 00011637
	v_cvt_off_f32_i4_sdwa v54, v55 dst_sel:DWORD dst_unused:UNUSED_PRESERVE src0_sel:BYTE_3// 000000008C40: 7E6C1CF9 00031637
	v_cvt_pk_fp8_f32 v57, v53, v54 op_sel:[0,0,1]              // 000000008C48: D2A24039 00026D35
	v_accvgpr_write_b32 a60, v56                               // 000000008C50: D3D9403C 18000138
	v_accvgpr_write_b32 a61, v57                               // 000000008C58: D3D9403D 18000139
	s_nop 3                                                    // 000000008C60: BF800003
	v_mfma_f32_16x16x32_fp8_fp8 v[152:155], a[60:61], v[236:237], v[152:155]// 000000008C64: D3F30098 0E63D93C
	v_accvgpr_read_b32 v52, a95                                // 000000008C6C: D3D84034 1800015F
	v_cvt_off_f32_i4_e32 v53, v52                              // 000000008C74: 7E6A1D34
	v_cvt_off_f32_i4_sdwa v54, v52 dst_sel:DWORD dst_unused:UNUSED_PRESERVE src0_sel:BYTE_2// 000000008C78: 7E6C1CF9 00021634
	v_cvt_pk_fp8_f32 v56, v53, v54                             // 000000008C80: D2A20038 00026D35
	v_cvt_off_f32_i4_sdwa v53, v52 dst_sel:DWORD dst_unused:UNUSED_PRESERVE src0_sel:BYTE_1// 000000008C88: 7E6A1CF9 00011634
	v_cvt_off_f32_i4_sdwa v54, v52 dst_sel:DWORD dst_unused:UNUSED_PRESERVE src0_sel:BYTE_3// 000000008C90: 7E6C1CF9 00031634
	v_cvt_pk_fp8_f32 v57, v53, v54                             // 000000008C98: D2A20039 00026D35
	v_lshrrev_b32_e32 v55, 4, v52                              // 000000008CA0: 206E6884
	v_cvt_off_f32_i4_e32 v53, v55                              // 000000008CA4: 7E6A1D37
	v_cvt_off_f32_i4_sdwa v54, v55 dst_sel:DWORD dst_unused:UNUSED_PRESERVE src0_sel:BYTE_2// 000000008CA8: 7E6C1CF9 00021637
	v_cvt_pk_fp8_f32 v56, v53, v54 op_sel:[0,0,1]              // 000000008CB0: D2A24038 00026D35
	v_cvt_off_f32_i4_sdwa v53, v55 dst_sel:DWORD dst_unused:UNUSED_PRESERVE src0_sel:BYTE_1// 000000008CB8: 7E6A1CF9 00011637
	v_cvt_off_f32_i4_sdwa v54, v55 dst_sel:DWORD dst_unused:UNUSED_PRESERVE src0_sel:BYTE_3// 000000008CC0: 7E6C1CF9 00031637
	v_cvt_pk_fp8_f32 v57, v53, v54 op_sel:[0,0,1]              // 000000008CC8: D2A24039 00026D35
	v_accvgpr_write_b32 a62, v56                               // 000000008CD0: D3D9403E 18000138
	v_accvgpr_write_b32 a63, v57                               // 000000008CD8: D3D9403F 18000139
	s_nop 3                                                    // 000000008CE0: BF800003
	v_mfma_f32_16x16x32_fp8_fp8 v[152:155], a[62:63], v[238:239], v[152:155]// 000000008CE4: D3F30098 0E63DD3E
	v_mfma_f32_16x16x32_fp8_fp8 v[156:159], a[48:49], v[240:241], v[156:159]// 000000008CEC: D3F3009C 0E73E130
	v_mfma_f32_16x16x32_fp8_fp8 v[156:159], a[50:51], v[242:243], v[156:159]// 000000008CF4: D3F3009C 0E73E532
	buffer_load_dwordx4 a[220:223], v37, s[92:95], 0 offen offset:1024// 000000008CFC: E05C1400 8097DC25
	v_mfma_f32_16x16x32_fp8_fp8 v[156:159], a[52:53], v[244:245], v[156:159]// 000000008D04: D3F3009C 0E73E934
	v_mfma_f32_16x16x32_fp8_fp8 v[156:159], a[54:55], v[246:247], v[156:159]// 000000008D0C: D3F3009C 0E73ED36
	v_mfma_f32_16x16x32_fp8_fp8 v[156:159], a[56:57], v[248:249], v[156:159]// 000000008D14: D3F3009C 0E73F138
	v_mfma_f32_16x16x32_fp8_fp8 v[156:159], a[58:59], v[250:251], v[156:159]// 000000008D1C: D3F3009C 0E73F53A
	v_mfma_f32_16x16x32_fp8_fp8 v[156:159], a[60:61], v[252:253], v[156:159]// 000000008D24: D3F3009C 0E73F93C
	v_mfma_f32_16x16x32_fp8_fp8 v[156:159], a[62:63], v[254:255], v[156:159]// 000000008D2C: D3F3009C 0E73FD3E
	s_waitcnt vmcnt(22)                                        // 000000008D34: BF8C4F76
	v_accvgpr_read_b32 v52, a96                                // 000000008D38: D3D84034 18000160
	v_cvt_off_f32_i4_e32 v53, v52                              // 000000008D40: 7E6A1D34
	v_cvt_off_f32_i4_sdwa v54, v52 dst_sel:DWORD dst_unused:UNUSED_PRESERVE src0_sel:BYTE_2// 000000008D44: 7E6C1CF9 00021634
	v_cvt_pk_fp8_f32 v56, v53, v54                             // 000000008D4C: D2A20038 00026D35
	v_cvt_off_f32_i4_sdwa v53, v52 dst_sel:DWORD dst_unused:UNUSED_PRESERVE src0_sel:BYTE_1// 000000008D54: 7E6A1CF9 00011634
	v_cvt_off_f32_i4_sdwa v54, v52 dst_sel:DWORD dst_unused:UNUSED_PRESERVE src0_sel:BYTE_3// 000000008D5C: 7E6C1CF9 00031634
	v_cvt_pk_fp8_f32 v57, v53, v54                             // 000000008D64: D2A20039 00026D35
	v_lshrrev_b32_e32 v55, 4, v52                              // 000000008D6C: 206E6884
	v_cvt_off_f32_i4_e32 v53, v55                              // 000000008D70: 7E6A1D37
	v_cvt_off_f32_i4_sdwa v54, v55 dst_sel:DWORD dst_unused:UNUSED_PRESERVE src0_sel:BYTE_2// 000000008D74: 7E6C1CF9 00021637
	v_cvt_pk_fp8_f32 v56, v53, v54 op_sel:[0,0,1]              // 000000008D7C: D2A24038 00026D35
	v_cvt_off_f32_i4_sdwa v53, v55 dst_sel:DWORD dst_unused:UNUSED_PRESERVE src0_sel:BYTE_1// 000000008D84: 7E6A1CF9 00011637
	v_cvt_off_f32_i4_sdwa v54, v55 dst_sel:DWORD dst_unused:UNUSED_PRESERVE src0_sel:BYTE_3// 000000008D8C: 7E6C1CF9 00031637
	v_cvt_pk_fp8_f32 v57, v53, v54 op_sel:[0,0,1]              // 000000008D94: D2A24039 00026D35
	v_accvgpr_write_b32 a64, v56                               // 000000008D9C: D3D94040 18000138
	v_accvgpr_write_b32 a65, v57                               // 000000008DA4: D3D94041 18000139
	s_nop 3                                                    // 000000008DAC: BF800003
	v_mfma_f32_16x16x32_fp8_fp8 v[160:163], a[64:65], v[224:225], v[160:163]// 000000008DB0: D3F300A0 0E83C140
	v_accvgpr_read_b32 v52, a97                                // 000000008DB8: D3D84034 18000161
	v_cvt_off_f32_i4_e32 v53, v52                              // 000000008DC0: 7E6A1D34
	v_cvt_off_f32_i4_sdwa v54, v52 dst_sel:DWORD dst_unused:UNUSED_PRESERVE src0_sel:BYTE_2// 000000008DC4: 7E6C1CF9 00021634
	v_cvt_pk_fp8_f32 v56, v53, v54                             // 000000008DCC: D2A20038 00026D35
	v_cvt_off_f32_i4_sdwa v53, v52 dst_sel:DWORD dst_unused:UNUSED_PRESERVE src0_sel:BYTE_1// 000000008DD4: 7E6A1CF9 00011634
	v_cvt_off_f32_i4_sdwa v54, v52 dst_sel:DWORD dst_unused:UNUSED_PRESERVE src0_sel:BYTE_3// 000000008DDC: 7E6C1CF9 00031634
	v_cvt_pk_fp8_f32 v57, v53, v54                             // 000000008DE4: D2A20039 00026D35
	v_lshrrev_b32_e32 v55, 4, v52                              // 000000008DEC: 206E6884
	v_cvt_off_f32_i4_e32 v53, v55                              // 000000008DF0: 7E6A1D37
	v_cvt_off_f32_i4_sdwa v54, v55 dst_sel:DWORD dst_unused:UNUSED_PRESERVE src0_sel:BYTE_2// 000000008DF4: 7E6C1CF9 00021637
	v_cvt_pk_fp8_f32 v56, v53, v54 op_sel:[0,0,1]              // 000000008DFC: D2A24038 00026D35
	v_cvt_off_f32_i4_sdwa v53, v55 dst_sel:DWORD dst_unused:UNUSED_PRESERVE src0_sel:BYTE_1// 000000008E04: 7E6A1CF9 00011637
	v_cvt_off_f32_i4_sdwa v54, v55 dst_sel:DWORD dst_unused:UNUSED_PRESERVE src0_sel:BYTE_3// 000000008E0C: 7E6C1CF9 00031637
	v_cvt_pk_fp8_f32 v57, v53, v54 op_sel:[0,0,1]              // 000000008E14: D2A24039 00026D35
	v_accvgpr_write_b32 a66, v56                               // 000000008E1C: D3D94042 18000138
	v_accvgpr_write_b32 a67, v57                               // 000000008E24: D3D94043 18000139
	s_nop 3                                                    // 000000008E2C: BF800003
	v_mfma_f32_16x16x32_fp8_fp8 v[160:163], a[66:67], v[226:227], v[160:163]// 000000008E30: D3F300A0 0E83C542
	buffer_load_dwordx4 a[224:227], v38, s[92:95], 0 offen     // 000000008E38: E05C1000 8097E026
	v_accvgpr_read_b32 v52, a98                                // 000000008E40: D3D84034 18000162
	v_cvt_off_f32_i4_e32 v53, v52                              // 000000008E48: 7E6A1D34
	v_cvt_off_f32_i4_sdwa v54, v52 dst_sel:DWORD dst_unused:UNUSED_PRESERVE src0_sel:BYTE_2// 000000008E4C: 7E6C1CF9 00021634
	v_cvt_pk_fp8_f32 v56, v53, v54                             // 000000008E54: D2A20038 00026D35
	v_cvt_off_f32_i4_sdwa v53, v52 dst_sel:DWORD dst_unused:UNUSED_PRESERVE src0_sel:BYTE_1// 000000008E5C: 7E6A1CF9 00011634
	v_cvt_off_f32_i4_sdwa v54, v52 dst_sel:DWORD dst_unused:UNUSED_PRESERVE src0_sel:BYTE_3// 000000008E64: 7E6C1CF9 00031634
	v_cvt_pk_fp8_f32 v57, v53, v54                             // 000000008E6C: D2A20039 00026D35
	v_lshrrev_b32_e32 v55, 4, v52                              // 000000008E74: 206E6884
	v_cvt_off_f32_i4_e32 v53, v55                              // 000000008E78: 7E6A1D37
	v_cvt_off_f32_i4_sdwa v54, v55 dst_sel:DWORD dst_unused:UNUSED_PRESERVE src0_sel:BYTE_2// 000000008E7C: 7E6C1CF9 00021637
	v_cvt_pk_fp8_f32 v56, v53, v54 op_sel:[0,0,1]              // 000000008E84: D2A24038 00026D35
	v_cvt_off_f32_i4_sdwa v53, v55 dst_sel:DWORD dst_unused:UNUSED_PRESERVE src0_sel:BYTE_1// 000000008E8C: 7E6A1CF9 00011637
	v_cvt_off_f32_i4_sdwa v54, v55 dst_sel:DWORD dst_unused:UNUSED_PRESERVE src0_sel:BYTE_3// 000000008E94: 7E6C1CF9 00031637
	v_cvt_pk_fp8_f32 v57, v53, v54 op_sel:[0,0,1]              // 000000008E9C: D2A24039 00026D35
	v_accvgpr_write_b32 a68, v56                               // 000000008EA4: D3D94044 18000138
	v_accvgpr_write_b32 a69, v57                               // 000000008EAC: D3D94045 18000139
	s_nop 3                                                    // 000000008EB4: BF800003
	v_mfma_f32_16x16x32_fp8_fp8 v[160:163], a[68:69], v[228:229], v[160:163]// 000000008EB8: D3F300A0 0E83C944
	v_accvgpr_read_b32 v52, a99                                // 000000008EC0: D3D84034 18000163
	v_cvt_off_f32_i4_e32 v53, v52                              // 000000008EC8: 7E6A1D34
	v_cvt_off_f32_i4_sdwa v54, v52 dst_sel:DWORD dst_unused:UNUSED_PRESERVE src0_sel:BYTE_2// 000000008ECC: 7E6C1CF9 00021634
	v_cvt_pk_fp8_f32 v56, v53, v54                             // 000000008ED4: D2A20038 00026D35
	v_cvt_off_f32_i4_sdwa v53, v52 dst_sel:DWORD dst_unused:UNUSED_PRESERVE src0_sel:BYTE_1// 000000008EDC: 7E6A1CF9 00011634
	v_cvt_off_f32_i4_sdwa v54, v52 dst_sel:DWORD dst_unused:UNUSED_PRESERVE src0_sel:BYTE_3// 000000008EE4: 7E6C1CF9 00031634
	v_cvt_pk_fp8_f32 v57, v53, v54                             // 000000008EEC: D2A20039 00026D35
	v_lshrrev_b32_e32 v55, 4, v52                              // 000000008EF4: 206E6884
	v_cvt_off_f32_i4_e32 v53, v55                              // 000000008EF8: 7E6A1D37
	v_cvt_off_f32_i4_sdwa v54, v55 dst_sel:DWORD dst_unused:UNUSED_PRESERVE src0_sel:BYTE_2// 000000008EFC: 7E6C1CF9 00021637
	v_cvt_pk_fp8_f32 v56, v53, v54 op_sel:[0,0,1]              // 000000008F04: D2A24038 00026D35
	v_cvt_off_f32_i4_sdwa v53, v55 dst_sel:DWORD dst_unused:UNUSED_PRESERVE src0_sel:BYTE_1// 000000008F0C: 7E6A1CF9 00011637
	v_cvt_off_f32_i4_sdwa v54, v55 dst_sel:DWORD dst_unused:UNUSED_PRESERVE src0_sel:BYTE_3// 000000008F14: 7E6C1CF9 00031637
	v_cvt_pk_fp8_f32 v57, v53, v54 op_sel:[0,0,1]              // 000000008F1C: D2A24039 00026D35
	v_accvgpr_write_b32 a70, v56                               // 000000008F24: D3D94046 18000138
	v_accvgpr_write_b32 a71, v57                               // 000000008F2C: D3D94047 18000139
	s_nop 3                                                    // 000000008F34: BF800003
	v_mfma_f32_16x16x32_fp8_fp8 v[160:163], a[70:71], v[230:231], v[160:163]// 000000008F38: D3F300A0 0E83CD46
	v_accvgpr_read_b32 v52, a100                               // 000000008F40: D3D84034 18000164
	v_cvt_off_f32_i4_e32 v53, v52                              // 000000008F48: 7E6A1D34
	v_cvt_off_f32_i4_sdwa v54, v52 dst_sel:DWORD dst_unused:UNUSED_PRESERVE src0_sel:BYTE_2// 000000008F4C: 7E6C1CF9 00021634
	v_cvt_pk_fp8_f32 v56, v53, v54                             // 000000008F54: D2A20038 00026D35
	v_cvt_off_f32_i4_sdwa v53, v52 dst_sel:DWORD dst_unused:UNUSED_PRESERVE src0_sel:BYTE_1// 000000008F5C: 7E6A1CF9 00011634
	v_cvt_off_f32_i4_sdwa v54, v52 dst_sel:DWORD dst_unused:UNUSED_PRESERVE src0_sel:BYTE_3// 000000008F64: 7E6C1CF9 00031634
	v_cvt_pk_fp8_f32 v57, v53, v54                             // 000000008F6C: D2A20039 00026D35
	v_lshrrev_b32_e32 v55, 4, v52                              // 000000008F74: 206E6884
	v_cvt_off_f32_i4_e32 v53, v55                              // 000000008F78: 7E6A1D37
	v_cvt_off_f32_i4_sdwa v54, v55 dst_sel:DWORD dst_unused:UNUSED_PRESERVE src0_sel:BYTE_2// 000000008F7C: 7E6C1CF9 00021637
	v_cvt_pk_fp8_f32 v56, v53, v54 op_sel:[0,0,1]              // 000000008F84: D2A24038 00026D35
	v_cvt_off_f32_i4_sdwa v53, v55 dst_sel:DWORD dst_unused:UNUSED_PRESERVE src0_sel:BYTE_1// 000000008F8C: 7E6A1CF9 00011637
	v_cvt_off_f32_i4_sdwa v54, v55 dst_sel:DWORD dst_unused:UNUSED_PRESERVE src0_sel:BYTE_3// 000000008F94: 7E6C1CF9 00031637
	v_cvt_pk_fp8_f32 v57, v53, v54 op_sel:[0,0,1]              // 000000008F9C: D2A24039 00026D35
	v_accvgpr_write_b32 a72, v56                               // 000000008FA4: D3D94048 18000138
	v_accvgpr_write_b32 a73, v57                               // 000000008FAC: D3D94049 18000139
	s_nop 3                                                    // 000000008FB4: BF800003
	v_mfma_f32_16x16x32_fp8_fp8 v[160:163], a[72:73], v[232:233], v[160:163]// 000000008FB8: D3F300A0 0E83D148
	v_accvgpr_read_b32 v52, a101                               // 000000008FC0: D3D84034 18000165
	v_cvt_off_f32_i4_e32 v53, v52                              // 000000008FC8: 7E6A1D34
	v_cvt_off_f32_i4_sdwa v54, v52 dst_sel:DWORD dst_unused:UNUSED_PRESERVE src0_sel:BYTE_2// 000000008FCC: 7E6C1CF9 00021634
	v_cvt_pk_fp8_f32 v56, v53, v54                             // 000000008FD4: D2A20038 00026D35
	v_cvt_off_f32_i4_sdwa v53, v52 dst_sel:DWORD dst_unused:UNUSED_PRESERVE src0_sel:BYTE_1// 000000008FDC: 7E6A1CF9 00011634
	v_cvt_off_f32_i4_sdwa v54, v52 dst_sel:DWORD dst_unused:UNUSED_PRESERVE src0_sel:BYTE_3// 000000008FE4: 7E6C1CF9 00031634
	v_cvt_pk_fp8_f32 v57, v53, v54                             // 000000008FEC: D2A20039 00026D35
	v_lshrrev_b32_e32 v55, 4, v52                              // 000000008FF4: 206E6884
	v_cvt_off_f32_i4_e32 v53, v55                              // 000000008FF8: 7E6A1D37
	v_cvt_off_f32_i4_sdwa v54, v55 dst_sel:DWORD dst_unused:UNUSED_PRESERVE src0_sel:BYTE_2// 000000008FFC: 7E6C1CF9 00021637
	v_cvt_pk_fp8_f32 v56, v53, v54 op_sel:[0,0,1]              // 000000009004: D2A24038 00026D35
	v_cvt_off_f32_i4_sdwa v53, v55 dst_sel:DWORD dst_unused:UNUSED_PRESERVE src0_sel:BYTE_1// 00000000900C: 7E6A1CF9 00011637
	v_cvt_off_f32_i4_sdwa v54, v55 dst_sel:DWORD dst_unused:UNUSED_PRESERVE src0_sel:BYTE_3// 000000009014: 7E6C1CF9 00031637
	v_cvt_pk_fp8_f32 v57, v53, v54 op_sel:[0,0,1]              // 00000000901C: D2A24039 00026D35
	v_accvgpr_write_b32 a74, v56                               // 000000009024: D3D9404A 18000138
	v_accvgpr_write_b32 a75, v57                               // 00000000902C: D3D9404B 18000139
	s_nop 3                                                    // 000000009034: BF800003
	v_mfma_f32_16x16x32_fp8_fp8 v[160:163], a[74:75], v[234:235], v[160:163]// 000000009038: D3F300A0 0E83D54A
	v_accvgpr_read_b32 v52, a102                               // 000000009040: D3D84034 18000166
	v_cvt_off_f32_i4_e32 v53, v52                              // 000000009048: 7E6A1D34
	v_cvt_off_f32_i4_sdwa v54, v52 dst_sel:DWORD dst_unused:UNUSED_PRESERVE src0_sel:BYTE_2// 00000000904C: 7E6C1CF9 00021634
	v_cvt_pk_fp8_f32 v56, v53, v54                             // 000000009054: D2A20038 00026D35
	v_cvt_off_f32_i4_sdwa v53, v52 dst_sel:DWORD dst_unused:UNUSED_PRESERVE src0_sel:BYTE_1// 00000000905C: 7E6A1CF9 00011634
	v_cvt_off_f32_i4_sdwa v54, v52 dst_sel:DWORD dst_unused:UNUSED_PRESERVE src0_sel:BYTE_3// 000000009064: 7E6C1CF9 00031634
	v_cvt_pk_fp8_f32 v57, v53, v54                             // 00000000906C: D2A20039 00026D35
	v_lshrrev_b32_e32 v55, 4, v52                              // 000000009074: 206E6884
	v_cvt_off_f32_i4_e32 v53, v55                              // 000000009078: 7E6A1D37
	v_cvt_off_f32_i4_sdwa v54, v55 dst_sel:DWORD dst_unused:UNUSED_PRESERVE src0_sel:BYTE_2// 00000000907C: 7E6C1CF9 00021637
	v_cvt_pk_fp8_f32 v56, v53, v54 op_sel:[0,0,1]              // 000000009084: D2A24038 00026D35
	v_cvt_off_f32_i4_sdwa v53, v55 dst_sel:DWORD dst_unused:UNUSED_PRESERVE src0_sel:BYTE_1// 00000000908C: 7E6A1CF9 00011637
	v_cvt_off_f32_i4_sdwa v54, v55 dst_sel:DWORD dst_unused:UNUSED_PRESERVE src0_sel:BYTE_3// 000000009094: 7E6C1CF9 00031637
	v_cvt_pk_fp8_f32 v57, v53, v54 op_sel:[0,0,1]              // 00000000909C: D2A24039 00026D35
	v_accvgpr_write_b32 a76, v56                               // 0000000090A4: D3D9404C 18000138
	v_accvgpr_write_b32 a77, v57                               // 0000000090AC: D3D9404D 18000139
	s_nop 3                                                    // 0000000090B4: BF800003
	v_mfma_f32_16x16x32_fp8_fp8 v[160:163], a[76:77], v[236:237], v[160:163]// 0000000090B8: D3F300A0 0E83D94C
	v_accvgpr_read_b32 v52, a103                               // 0000000090C0: D3D84034 18000167
	v_cvt_off_f32_i4_e32 v53, v52                              // 0000000090C8: 7E6A1D34
	v_cvt_off_f32_i4_sdwa v54, v52 dst_sel:DWORD dst_unused:UNUSED_PRESERVE src0_sel:BYTE_2// 0000000090CC: 7E6C1CF9 00021634
	v_cvt_pk_fp8_f32 v56, v53, v54                             // 0000000090D4: D2A20038 00026D35
	v_cvt_off_f32_i4_sdwa v53, v52 dst_sel:DWORD dst_unused:UNUSED_PRESERVE src0_sel:BYTE_1// 0000000090DC: 7E6A1CF9 00011634
	v_cvt_off_f32_i4_sdwa v54, v52 dst_sel:DWORD dst_unused:UNUSED_PRESERVE src0_sel:BYTE_3// 0000000090E4: 7E6C1CF9 00031634
	v_cvt_pk_fp8_f32 v57, v53, v54                             // 0000000090EC: D2A20039 00026D35
	v_lshrrev_b32_e32 v55, 4, v52                              // 0000000090F4: 206E6884
	v_cvt_off_f32_i4_e32 v53, v55                              // 0000000090F8: 7E6A1D37
	v_cvt_off_f32_i4_sdwa v54, v55 dst_sel:DWORD dst_unused:UNUSED_PRESERVE src0_sel:BYTE_2// 0000000090FC: 7E6C1CF9 00021637
	v_cvt_pk_fp8_f32 v56, v53, v54 op_sel:[0,0,1]              // 000000009104: D2A24038 00026D35
	v_cvt_off_f32_i4_sdwa v53, v55 dst_sel:DWORD dst_unused:UNUSED_PRESERVE src0_sel:BYTE_1// 00000000910C: 7E6A1CF9 00011637
	v_cvt_off_f32_i4_sdwa v54, v55 dst_sel:DWORD dst_unused:UNUSED_PRESERVE src0_sel:BYTE_3// 000000009114: 7E6C1CF9 00031637
	v_cvt_pk_fp8_f32 v57, v53, v54 op_sel:[0,0,1]              // 00000000911C: D2A24039 00026D35
	v_accvgpr_write_b32 a78, v56                               // 000000009124: D3D9404E 18000138
	v_accvgpr_write_b32 a79, v57                               // 00000000912C: D3D9404F 18000139
	s_nop 3                                                    // 000000009134: BF800003
	v_mfma_f32_16x16x32_fp8_fp8 v[160:163], a[78:79], v[238:239], v[160:163]// 000000009138: D3F300A0 0E83DD4E
	v_mfma_f32_16x16x32_fp8_fp8 v[164:167], a[64:65], v[240:241], v[164:167]// 000000009140: D3F300A4 0E93E140
	v_mfma_f32_16x16x32_fp8_fp8 v[164:167], a[66:67], v[242:243], v[164:167]// 000000009148: D3F300A4 0E93E542
	buffer_load_dwordx4 a[228:231], v38, s[92:95], 0 offen offset:1024// 000000009150: E05C1400 8097E426
	v_mfma_f32_16x16x32_fp8_fp8 v[164:167], a[68:69], v[244:245], v[164:167]// 000000009158: D3F300A4 0E93E944
	v_mfma_f32_16x16x32_fp8_fp8 v[164:167], a[70:71], v[246:247], v[164:167]// 000000009160: D3F300A4 0E93ED46
	v_mfma_f32_16x16x32_fp8_fp8 v[164:167], a[72:73], v[248:249], v[164:167]// 000000009168: D3F300A4 0E93F148
	v_mfma_f32_16x16x32_fp8_fp8 v[164:167], a[74:75], v[250:251], v[164:167]// 000000009170: D3F300A4 0E93F54A
	v_mfma_f32_16x16x32_fp8_fp8 v[164:167], a[76:77], v[252:253], v[164:167]// 000000009178: D3F300A4 0E93F94C
	v_mfma_f32_16x16x32_fp8_fp8 v[164:167], a[78:79], v[254:255], v[164:167]// 000000009180: D3F300A4 0E93FD4E
	s_waitcnt vmcnt(22)                                        // 000000009188: BF8C4F76
	v_accvgpr_read_b32 v52, a104                               // 00000000918C: D3D84034 18000168
	v_cvt_off_f32_i4_e32 v53, v52                              // 000000009194: 7E6A1D34
	v_cvt_off_f32_i4_sdwa v54, v52 dst_sel:DWORD dst_unused:UNUSED_PRESERVE src0_sel:BYTE_2// 000000009198: 7E6C1CF9 00021634
	v_cvt_pk_fp8_f32 v56, v53, v54                             // 0000000091A0: D2A20038 00026D35
	v_cvt_off_f32_i4_sdwa v53, v52 dst_sel:DWORD dst_unused:UNUSED_PRESERVE src0_sel:BYTE_1// 0000000091A8: 7E6A1CF9 00011634
	v_cvt_off_f32_i4_sdwa v54, v52 dst_sel:DWORD dst_unused:UNUSED_PRESERVE src0_sel:BYTE_3// 0000000091B0: 7E6C1CF9 00031634
	v_cvt_pk_fp8_f32 v57, v53, v54                             // 0000000091B8: D2A20039 00026D35
	v_lshrrev_b32_e32 v55, 4, v52                              // 0000000091C0: 206E6884
	v_cvt_off_f32_i4_e32 v53, v55                              // 0000000091C4: 7E6A1D37
	v_cvt_off_f32_i4_sdwa v54, v55 dst_sel:DWORD dst_unused:UNUSED_PRESERVE src0_sel:BYTE_2// 0000000091C8: 7E6C1CF9 00021637
	v_cvt_pk_fp8_f32 v56, v53, v54 op_sel:[0,0,1]              // 0000000091D0: D2A24038 00026D35
	v_cvt_off_f32_i4_sdwa v53, v55 dst_sel:DWORD dst_unused:UNUSED_PRESERVE src0_sel:BYTE_1// 0000000091D8: 7E6A1CF9 00011637
	v_cvt_off_f32_i4_sdwa v54, v55 dst_sel:DWORD dst_unused:UNUSED_PRESERVE src0_sel:BYTE_3// 0000000091E0: 7E6C1CF9 00031637
	v_cvt_pk_fp8_f32 v57, v53, v54 op_sel:[0,0,1]              // 0000000091E8: D2A24039 00026D35
	v_accvgpr_write_b32 a80, v56                               // 0000000091F0: D3D94050 18000138
	v_accvgpr_write_b32 a81, v57                               // 0000000091F8: D3D94051 18000139
	s_nop 3                                                    // 000000009200: BF800003
	v_mfma_f32_16x16x32_fp8_fp8 v[168:171], a[80:81], v[224:225], v[168:171]// 000000009204: D3F300A8 0EA3C150
	v_accvgpr_read_b32 v52, a105                               // 00000000920C: D3D84034 18000169
	v_cvt_off_f32_i4_e32 v53, v52                              // 000000009214: 7E6A1D34
	v_cvt_off_f32_i4_sdwa v54, v52 dst_sel:DWORD dst_unused:UNUSED_PRESERVE src0_sel:BYTE_2// 000000009218: 7E6C1CF9 00021634
	v_cvt_pk_fp8_f32 v56, v53, v54                             // 000000009220: D2A20038 00026D35
	v_cvt_off_f32_i4_sdwa v53, v52 dst_sel:DWORD dst_unused:UNUSED_PRESERVE src0_sel:BYTE_1// 000000009228: 7E6A1CF9 00011634
	v_cvt_off_f32_i4_sdwa v54, v52 dst_sel:DWORD dst_unused:UNUSED_PRESERVE src0_sel:BYTE_3// 000000009230: 7E6C1CF9 00031634
	v_cvt_pk_fp8_f32 v57, v53, v54                             // 000000009238: D2A20039 00026D35
	v_lshrrev_b32_e32 v55, 4, v52                              // 000000009240: 206E6884
	v_cvt_off_f32_i4_e32 v53, v55                              // 000000009244: 7E6A1D37
	v_cvt_off_f32_i4_sdwa v54, v55 dst_sel:DWORD dst_unused:UNUSED_PRESERVE src0_sel:BYTE_2// 000000009248: 7E6C1CF9 00021637
	v_cvt_pk_fp8_f32 v56, v53, v54 op_sel:[0,0,1]              // 000000009250: D2A24038 00026D35
	v_cvt_off_f32_i4_sdwa v53, v55 dst_sel:DWORD dst_unused:UNUSED_PRESERVE src0_sel:BYTE_1// 000000009258: 7E6A1CF9 00011637
	v_cvt_off_f32_i4_sdwa v54, v55 dst_sel:DWORD dst_unused:UNUSED_PRESERVE src0_sel:BYTE_3// 000000009260: 7E6C1CF9 00031637
	v_cvt_pk_fp8_f32 v57, v53, v54 op_sel:[0,0,1]              // 000000009268: D2A24039 00026D35
	v_accvgpr_write_b32 a82, v56                               // 000000009270: D3D94052 18000138
	v_accvgpr_write_b32 a83, v57                               // 000000009278: D3D94053 18000139
	s_nop 3                                                    // 000000009280: BF800003
	v_mfma_f32_16x16x32_fp8_fp8 v[168:171], a[82:83], v[226:227], v[168:171]// 000000009284: D3F300A8 0EA3C552
	buffer_load_dwordx4 a[232:235], v39, s[92:95], 0 offen     // 00000000928C: E05C1000 8097E827
	v_accvgpr_read_b32 v52, a106                               // 000000009294: D3D84034 1800016A
	v_cvt_off_f32_i4_e32 v53, v52                              // 00000000929C: 7E6A1D34
	v_cvt_off_f32_i4_sdwa v54, v52 dst_sel:DWORD dst_unused:UNUSED_PRESERVE src0_sel:BYTE_2// 0000000092A0: 7E6C1CF9 00021634
	v_cvt_pk_fp8_f32 v56, v53, v54                             // 0000000092A8: D2A20038 00026D35
	v_cvt_off_f32_i4_sdwa v53, v52 dst_sel:DWORD dst_unused:UNUSED_PRESERVE src0_sel:BYTE_1// 0000000092B0: 7E6A1CF9 00011634
	v_cvt_off_f32_i4_sdwa v54, v52 dst_sel:DWORD dst_unused:UNUSED_PRESERVE src0_sel:BYTE_3// 0000000092B8: 7E6C1CF9 00031634
	v_cvt_pk_fp8_f32 v57, v53, v54                             // 0000000092C0: D2A20039 00026D35
	v_lshrrev_b32_e32 v55, 4, v52                              // 0000000092C8: 206E6884
	v_cvt_off_f32_i4_e32 v53, v55                              // 0000000092CC: 7E6A1D37
	v_cvt_off_f32_i4_sdwa v54, v55 dst_sel:DWORD dst_unused:UNUSED_PRESERVE src0_sel:BYTE_2// 0000000092D0: 7E6C1CF9 00021637
	v_cvt_pk_fp8_f32 v56, v53, v54 op_sel:[0,0,1]              // 0000000092D8: D2A24038 00026D35
	v_cvt_off_f32_i4_sdwa v53, v55 dst_sel:DWORD dst_unused:UNUSED_PRESERVE src0_sel:BYTE_1// 0000000092E0: 7E6A1CF9 00011637
	v_cvt_off_f32_i4_sdwa v54, v55 dst_sel:DWORD dst_unused:UNUSED_PRESERVE src0_sel:BYTE_3// 0000000092E8: 7E6C1CF9 00031637
	v_cvt_pk_fp8_f32 v57, v53, v54 op_sel:[0,0,1]              // 0000000092F0: D2A24039 00026D35
	v_accvgpr_write_b32 a84, v56                               // 0000000092F8: D3D94054 18000138
	v_accvgpr_write_b32 a85, v57                               // 000000009300: D3D94055 18000139
	s_nop 3                                                    // 000000009308: BF800003
	v_mfma_f32_16x16x32_fp8_fp8 v[168:171], a[84:85], v[228:229], v[168:171]// 00000000930C: D3F300A8 0EA3C954
	v_accvgpr_read_b32 v52, a107                               // 000000009314: D3D84034 1800016B
	v_cvt_off_f32_i4_e32 v53, v52                              // 00000000931C: 7E6A1D34
	v_cvt_off_f32_i4_sdwa v54, v52 dst_sel:DWORD dst_unused:UNUSED_PRESERVE src0_sel:BYTE_2// 000000009320: 7E6C1CF9 00021634
	v_cvt_pk_fp8_f32 v56, v53, v54                             // 000000009328: D2A20038 00026D35
	v_cvt_off_f32_i4_sdwa v53, v52 dst_sel:DWORD dst_unused:UNUSED_PRESERVE src0_sel:BYTE_1// 000000009330: 7E6A1CF9 00011634
	v_cvt_off_f32_i4_sdwa v54, v52 dst_sel:DWORD dst_unused:UNUSED_PRESERVE src0_sel:BYTE_3// 000000009338: 7E6C1CF9 00031634
	v_cvt_pk_fp8_f32 v57, v53, v54                             // 000000009340: D2A20039 00026D35
	v_lshrrev_b32_e32 v55, 4, v52                              // 000000009348: 206E6884
	v_cvt_off_f32_i4_e32 v53, v55                              // 00000000934C: 7E6A1D37
	v_cvt_off_f32_i4_sdwa v54, v55 dst_sel:DWORD dst_unused:UNUSED_PRESERVE src0_sel:BYTE_2// 000000009350: 7E6C1CF9 00021637
	v_cvt_pk_fp8_f32 v56, v53, v54 op_sel:[0,0,1]              // 000000009358: D2A24038 00026D35
	v_cvt_off_f32_i4_sdwa v53, v55 dst_sel:DWORD dst_unused:UNUSED_PRESERVE src0_sel:BYTE_1// 000000009360: 7E6A1CF9 00011637
	v_cvt_off_f32_i4_sdwa v54, v55 dst_sel:DWORD dst_unused:UNUSED_PRESERVE src0_sel:BYTE_3// 000000009368: 7E6C1CF9 00031637
	v_cvt_pk_fp8_f32 v57, v53, v54 op_sel:[0,0,1]              // 000000009370: D2A24039 00026D35
	v_accvgpr_write_b32 a86, v56                               // 000000009378: D3D94056 18000138
	v_accvgpr_write_b32 a87, v57                               // 000000009380: D3D94057 18000139
	s_nop 3                                                    // 000000009388: BF800003
	v_mfma_f32_16x16x32_fp8_fp8 v[168:171], a[86:87], v[230:231], v[168:171]// 00000000938C: D3F300A8 0EA3CD56
	v_accvgpr_read_b32 v52, a108                               // 000000009394: D3D84034 1800016C
	v_cvt_off_f32_i4_e32 v53, v52                              // 00000000939C: 7E6A1D34
	v_cvt_off_f32_i4_sdwa v54, v52 dst_sel:DWORD dst_unused:UNUSED_PRESERVE src0_sel:BYTE_2// 0000000093A0: 7E6C1CF9 00021634
	v_cvt_pk_fp8_f32 v56, v53, v54                             // 0000000093A8: D2A20038 00026D35
	v_cvt_off_f32_i4_sdwa v53, v52 dst_sel:DWORD dst_unused:UNUSED_PRESERVE src0_sel:BYTE_1// 0000000093B0: 7E6A1CF9 00011634
	v_cvt_off_f32_i4_sdwa v54, v52 dst_sel:DWORD dst_unused:UNUSED_PRESERVE src0_sel:BYTE_3// 0000000093B8: 7E6C1CF9 00031634
	v_cvt_pk_fp8_f32 v57, v53, v54                             // 0000000093C0: D2A20039 00026D35
	v_lshrrev_b32_e32 v55, 4, v52                              // 0000000093C8: 206E6884
	v_cvt_off_f32_i4_e32 v53, v55                              // 0000000093CC: 7E6A1D37
	v_cvt_off_f32_i4_sdwa v54, v55 dst_sel:DWORD dst_unused:UNUSED_PRESERVE src0_sel:BYTE_2// 0000000093D0: 7E6C1CF9 00021637
	v_cvt_pk_fp8_f32 v56, v53, v54 op_sel:[0,0,1]              // 0000000093D8: D2A24038 00026D35
	v_cvt_off_f32_i4_sdwa v53, v55 dst_sel:DWORD dst_unused:UNUSED_PRESERVE src0_sel:BYTE_1// 0000000093E0: 7E6A1CF9 00011637
	v_cvt_off_f32_i4_sdwa v54, v55 dst_sel:DWORD dst_unused:UNUSED_PRESERVE src0_sel:BYTE_3// 0000000093E8: 7E6C1CF9 00031637
	v_cvt_pk_fp8_f32 v57, v53, v54 op_sel:[0,0,1]              // 0000000093F0: D2A24039 00026D35
	v_accvgpr_write_b32 a88, v56                               // 0000000093F8: D3D94058 18000138
	v_accvgpr_write_b32 a89, v57                               // 000000009400: D3D94059 18000139
	s_nop 3                                                    // 000000009408: BF800003
	v_mfma_f32_16x16x32_fp8_fp8 v[168:171], a[88:89], v[232:233], v[168:171]// 00000000940C: D3F300A8 0EA3D158
	v_accvgpr_read_b32 v52, a109                               // 000000009414: D3D84034 1800016D
	v_cvt_off_f32_i4_e32 v53, v52                              // 00000000941C: 7E6A1D34
	v_cvt_off_f32_i4_sdwa v54, v52 dst_sel:DWORD dst_unused:UNUSED_PRESERVE src0_sel:BYTE_2// 000000009420: 7E6C1CF9 00021634
	v_cvt_pk_fp8_f32 v56, v53, v54                             // 000000009428: D2A20038 00026D35
	v_cvt_off_f32_i4_sdwa v53, v52 dst_sel:DWORD dst_unused:UNUSED_PRESERVE src0_sel:BYTE_1// 000000009430: 7E6A1CF9 00011634
	v_cvt_off_f32_i4_sdwa v54, v52 dst_sel:DWORD dst_unused:UNUSED_PRESERVE src0_sel:BYTE_3// 000000009438: 7E6C1CF9 00031634
	v_cvt_pk_fp8_f32 v57, v53, v54                             // 000000009440: D2A20039 00026D35
	v_lshrrev_b32_e32 v55, 4, v52                              // 000000009448: 206E6884
	v_cvt_off_f32_i4_e32 v53, v55                              // 00000000944C: 7E6A1D37
	v_cvt_off_f32_i4_sdwa v54, v55 dst_sel:DWORD dst_unused:UNUSED_PRESERVE src0_sel:BYTE_2// 000000009450: 7E6C1CF9 00021637
	v_cvt_pk_fp8_f32 v56, v53, v54 op_sel:[0,0,1]              // 000000009458: D2A24038 00026D35
	v_cvt_off_f32_i4_sdwa v53, v55 dst_sel:DWORD dst_unused:UNUSED_PRESERVE src0_sel:BYTE_1// 000000009460: 7E6A1CF9 00011637
	v_cvt_off_f32_i4_sdwa v54, v55 dst_sel:DWORD dst_unused:UNUSED_PRESERVE src0_sel:BYTE_3// 000000009468: 7E6C1CF9 00031637
	v_cvt_pk_fp8_f32 v57, v53, v54 op_sel:[0,0,1]              // 000000009470: D2A24039 00026D35
	v_accvgpr_write_b32 a90, v56                               // 000000009478: D3D9405A 18000138
	v_accvgpr_write_b32 a91, v57                               // 000000009480: D3D9405B 18000139
	s_nop 3                                                    // 000000009488: BF800003
	v_mfma_f32_16x16x32_fp8_fp8 v[168:171], a[90:91], v[234:235], v[168:171]// 00000000948C: D3F300A8 0EA3D55A
	v_accvgpr_read_b32 v52, a110                               // 000000009494: D3D84034 1800016E
	v_cvt_off_f32_i4_e32 v53, v52                              // 00000000949C: 7E6A1D34
	v_cvt_off_f32_i4_sdwa v54, v52 dst_sel:DWORD dst_unused:UNUSED_PRESERVE src0_sel:BYTE_2// 0000000094A0: 7E6C1CF9 00021634
	v_cvt_pk_fp8_f32 v56, v53, v54                             // 0000000094A8: D2A20038 00026D35
	v_cvt_off_f32_i4_sdwa v53, v52 dst_sel:DWORD dst_unused:UNUSED_PRESERVE src0_sel:BYTE_1// 0000000094B0: 7E6A1CF9 00011634
	v_cvt_off_f32_i4_sdwa v54, v52 dst_sel:DWORD dst_unused:UNUSED_PRESERVE src0_sel:BYTE_3// 0000000094B8: 7E6C1CF9 00031634
	v_cvt_pk_fp8_f32 v57, v53, v54                             // 0000000094C0: D2A20039 00026D35
	v_lshrrev_b32_e32 v55, 4, v52                              // 0000000094C8: 206E6884
	v_cvt_off_f32_i4_e32 v53, v55                              // 0000000094CC: 7E6A1D37
	v_cvt_off_f32_i4_sdwa v54, v55 dst_sel:DWORD dst_unused:UNUSED_PRESERVE src0_sel:BYTE_2// 0000000094D0: 7E6C1CF9 00021637
	v_cvt_pk_fp8_f32 v56, v53, v54 op_sel:[0,0,1]              // 0000000094D8: D2A24038 00026D35
	v_cvt_off_f32_i4_sdwa v53, v55 dst_sel:DWORD dst_unused:UNUSED_PRESERVE src0_sel:BYTE_1// 0000000094E0: 7E6A1CF9 00011637
	v_cvt_off_f32_i4_sdwa v54, v55 dst_sel:DWORD dst_unused:UNUSED_PRESERVE src0_sel:BYTE_3// 0000000094E8: 7E6C1CF9 00031637
	v_cvt_pk_fp8_f32 v57, v53, v54 op_sel:[0,0,1]              // 0000000094F0: D2A24039 00026D35
	v_accvgpr_write_b32 a92, v56                               // 0000000094F8: D3D9405C 18000138
	v_accvgpr_write_b32 a93, v57                               // 000000009500: D3D9405D 18000139
	s_nop 3                                                    // 000000009508: BF800003
	v_mfma_f32_16x16x32_fp8_fp8 v[168:171], a[92:93], v[236:237], v[168:171]// 00000000950C: D3F300A8 0EA3D95C
	v_accvgpr_read_b32 v52, a111                               // 000000009514: D3D84034 1800016F
	v_cvt_off_f32_i4_e32 v53, v52                              // 00000000951C: 7E6A1D34
	v_cvt_off_f32_i4_sdwa v54, v52 dst_sel:DWORD dst_unused:UNUSED_PRESERVE src0_sel:BYTE_2// 000000009520: 7E6C1CF9 00021634
	v_cvt_pk_fp8_f32 v56, v53, v54                             // 000000009528: D2A20038 00026D35
	v_cvt_off_f32_i4_sdwa v53, v52 dst_sel:DWORD dst_unused:UNUSED_PRESERVE src0_sel:BYTE_1// 000000009530: 7E6A1CF9 00011634
	v_cvt_off_f32_i4_sdwa v54, v52 dst_sel:DWORD dst_unused:UNUSED_PRESERVE src0_sel:BYTE_3// 000000009538: 7E6C1CF9 00031634
	v_cvt_pk_fp8_f32 v57, v53, v54                             // 000000009540: D2A20039 00026D35
	v_lshrrev_b32_e32 v55, 4, v52                              // 000000009548: 206E6884
	v_cvt_off_f32_i4_e32 v53, v55                              // 00000000954C: 7E6A1D37
	v_cvt_off_f32_i4_sdwa v54, v55 dst_sel:DWORD dst_unused:UNUSED_PRESERVE src0_sel:BYTE_2// 000000009550: 7E6C1CF9 00021637
	v_cvt_pk_fp8_f32 v56, v53, v54 op_sel:[0,0,1]              // 000000009558: D2A24038 00026D35
	v_cvt_off_f32_i4_sdwa v53, v55 dst_sel:DWORD dst_unused:UNUSED_PRESERVE src0_sel:BYTE_1// 000000009560: 7E6A1CF9 00011637
	v_cvt_off_f32_i4_sdwa v54, v55 dst_sel:DWORD dst_unused:UNUSED_PRESERVE src0_sel:BYTE_3// 000000009568: 7E6C1CF9 00031637
	v_cvt_pk_fp8_f32 v57, v53, v54 op_sel:[0,0,1]              // 000000009570: D2A24039 00026D35
	v_accvgpr_write_b32 a94, v56                               // 000000009578: D3D9405E 18000138
	v_accvgpr_write_b32 a95, v57                               // 000000009580: D3D9405F 18000139
	s_nop 3                                                    // 000000009588: BF800003
	v_mfma_f32_16x16x32_fp8_fp8 v[168:171], a[94:95], v[238:239], v[168:171]// 00000000958C: D3F300A8 0EA3DD5E
	v_mfma_f32_16x16x32_fp8_fp8 v[172:175], a[80:81], v[240:241], v[172:175]// 000000009594: D3F300AC 0EB3E150
	v_mfma_f32_16x16x32_fp8_fp8 v[172:175], a[82:83], v[242:243], v[172:175]// 00000000959C: D3F300AC 0EB3E552
	buffer_load_dwordx4 a[236:239], v39, s[92:95], 0 offen offset:1024// 0000000095A4: E05C1400 8097EC27
	v_mfma_f32_16x16x32_fp8_fp8 v[172:175], a[84:85], v[244:245], v[172:175]// 0000000095AC: D3F300AC 0EB3E954
	v_mfma_f32_16x16x32_fp8_fp8 v[172:175], a[86:87], v[246:247], v[172:175]// 0000000095B4: D3F300AC 0EB3ED56
	v_mfma_f32_16x16x32_fp8_fp8 v[172:175], a[88:89], v[248:249], v[172:175]// 0000000095BC: D3F300AC 0EB3F158
	v_mfma_f32_16x16x32_fp8_fp8 v[172:175], a[90:91], v[250:251], v[172:175]// 0000000095C4: D3F300AC 0EB3F55A
	v_mfma_f32_16x16x32_fp8_fp8 v[172:175], a[92:93], v[252:253], v[172:175]// 0000000095CC: D3F300AC 0EB3F95C
	v_mfma_f32_16x16x32_fp8_fp8 v[172:175], a[94:95], v[254:255], v[172:175]// 0000000095D4: D3F300AC 0EB3FD5E
	s_waitcnt vmcnt(22)                                        // 0000000095DC: BF8C4F76
	v_accvgpr_read_b32 v52, a112                               // 0000000095E0: D3D84034 18000170
	v_cvt_off_f32_i4_e32 v53, v52                              // 0000000095E8: 7E6A1D34
	v_cvt_off_f32_i4_sdwa v54, v52 dst_sel:DWORD dst_unused:UNUSED_PRESERVE src0_sel:BYTE_2// 0000000095EC: 7E6C1CF9 00021634
	v_cvt_pk_fp8_f32 v56, v53, v54                             // 0000000095F4: D2A20038 00026D35
	v_cvt_off_f32_i4_sdwa v53, v52 dst_sel:DWORD dst_unused:UNUSED_PRESERVE src0_sel:BYTE_1// 0000000095FC: 7E6A1CF9 00011634
	v_cvt_off_f32_i4_sdwa v54, v52 dst_sel:DWORD dst_unused:UNUSED_PRESERVE src0_sel:BYTE_3// 000000009604: 7E6C1CF9 00031634
	v_cvt_pk_fp8_f32 v57, v53, v54                             // 00000000960C: D2A20039 00026D35
	v_lshrrev_b32_e32 v55, 4, v52                              // 000000009614: 206E6884
	v_cvt_off_f32_i4_e32 v53, v55                              // 000000009618: 7E6A1D37
	v_cvt_off_f32_i4_sdwa v54, v55 dst_sel:DWORD dst_unused:UNUSED_PRESERVE src0_sel:BYTE_2// 00000000961C: 7E6C1CF9 00021637
	v_cvt_pk_fp8_f32 v56, v53, v54 op_sel:[0,0,1]              // 000000009624: D2A24038 00026D35
	v_cvt_off_f32_i4_sdwa v53, v55 dst_sel:DWORD dst_unused:UNUSED_PRESERVE src0_sel:BYTE_1// 00000000962C: 7E6A1CF9 00011637
	v_cvt_off_f32_i4_sdwa v54, v55 dst_sel:DWORD dst_unused:UNUSED_PRESERVE src0_sel:BYTE_3// 000000009634: 7E6C1CF9 00031637
	v_cvt_pk_fp8_f32 v57, v53, v54 op_sel:[0,0,1]              // 00000000963C: D2A24039 00026D35
	v_accvgpr_write_b32 a96, v56                               // 000000009644: D3D94060 18000138
	v_accvgpr_write_b32 a97, v57                               // 00000000964C: D3D94061 18000139
	s_nop 3                                                    // 000000009654: BF800003
	v_mfma_f32_16x16x32_fp8_fp8 v[176:179], a[96:97], v[224:225], v[176:179]// 000000009658: D3F300B0 0EC3C160
	v_accvgpr_read_b32 v52, a113                               // 000000009660: D3D84034 18000171
	v_cvt_off_f32_i4_e32 v53, v52                              // 000000009668: 7E6A1D34
	v_cvt_off_f32_i4_sdwa v54, v52 dst_sel:DWORD dst_unused:UNUSED_PRESERVE src0_sel:BYTE_2// 00000000966C: 7E6C1CF9 00021634
	v_cvt_pk_fp8_f32 v56, v53, v54                             // 000000009674: D2A20038 00026D35
	v_cvt_off_f32_i4_sdwa v53, v52 dst_sel:DWORD dst_unused:UNUSED_PRESERVE src0_sel:BYTE_1// 00000000967C: 7E6A1CF9 00011634
	v_cvt_off_f32_i4_sdwa v54, v52 dst_sel:DWORD dst_unused:UNUSED_PRESERVE src0_sel:BYTE_3// 000000009684: 7E6C1CF9 00031634
	v_cvt_pk_fp8_f32 v57, v53, v54                             // 00000000968C: D2A20039 00026D35
	v_lshrrev_b32_e32 v55, 4, v52                              // 000000009694: 206E6884
	v_cvt_off_f32_i4_e32 v53, v55                              // 000000009698: 7E6A1D37
	v_cvt_off_f32_i4_sdwa v54, v55 dst_sel:DWORD dst_unused:UNUSED_PRESERVE src0_sel:BYTE_2// 00000000969C: 7E6C1CF9 00021637
	v_cvt_pk_fp8_f32 v56, v53, v54 op_sel:[0,0,1]              // 0000000096A4: D2A24038 00026D35
	v_cvt_off_f32_i4_sdwa v53, v55 dst_sel:DWORD dst_unused:UNUSED_PRESERVE src0_sel:BYTE_1// 0000000096AC: 7E6A1CF9 00011637
	v_cvt_off_f32_i4_sdwa v54, v55 dst_sel:DWORD dst_unused:UNUSED_PRESERVE src0_sel:BYTE_3// 0000000096B4: 7E6C1CF9 00031637
	v_cvt_pk_fp8_f32 v57, v53, v54 op_sel:[0,0,1]              // 0000000096BC: D2A24039 00026D35
	v_accvgpr_write_b32 a98, v56                               // 0000000096C4: D3D94062 18000138
	v_accvgpr_write_b32 a99, v57                               // 0000000096CC: D3D94063 18000139
	s_nop 3                                                    // 0000000096D4: BF800003
	v_mfma_f32_16x16x32_fp8_fp8 v[176:179], a[98:99], v[226:227], v[176:179]// 0000000096D8: D3F300B0 0EC3C562
	buffer_load_dwordx4 a[240:243], v40, s[92:95], 0 offen     // 0000000096E0: E05C1000 8097F028
	v_accvgpr_read_b32 v52, a114                               // 0000000096E8: D3D84034 18000172
	v_cvt_off_f32_i4_e32 v53, v52                              // 0000000096F0: 7E6A1D34
	v_cvt_off_f32_i4_sdwa v54, v52 dst_sel:DWORD dst_unused:UNUSED_PRESERVE src0_sel:BYTE_2// 0000000096F4: 7E6C1CF9 00021634
	v_cvt_pk_fp8_f32 v56, v53, v54                             // 0000000096FC: D2A20038 00026D35
	v_cvt_off_f32_i4_sdwa v53, v52 dst_sel:DWORD dst_unused:UNUSED_PRESERVE src0_sel:BYTE_1// 000000009704: 7E6A1CF9 00011634
	v_cvt_off_f32_i4_sdwa v54, v52 dst_sel:DWORD dst_unused:UNUSED_PRESERVE src0_sel:BYTE_3// 00000000970C: 7E6C1CF9 00031634
	v_cvt_pk_fp8_f32 v57, v53, v54                             // 000000009714: D2A20039 00026D35
	v_lshrrev_b32_e32 v55, 4, v52                              // 00000000971C: 206E6884
	v_cvt_off_f32_i4_e32 v53, v55                              // 000000009720: 7E6A1D37
	v_cvt_off_f32_i4_sdwa v54, v55 dst_sel:DWORD dst_unused:UNUSED_PRESERVE src0_sel:BYTE_2// 000000009724: 7E6C1CF9 00021637
	v_cvt_pk_fp8_f32 v56, v53, v54 op_sel:[0,0,1]              // 00000000972C: D2A24038 00026D35
	v_cvt_off_f32_i4_sdwa v53, v55 dst_sel:DWORD dst_unused:UNUSED_PRESERVE src0_sel:BYTE_1// 000000009734: 7E6A1CF9 00011637
	v_cvt_off_f32_i4_sdwa v54, v55 dst_sel:DWORD dst_unused:UNUSED_PRESERVE src0_sel:BYTE_3// 00000000973C: 7E6C1CF9 00031637
	v_cvt_pk_fp8_f32 v57, v53, v54 op_sel:[0,0,1]              // 000000009744: D2A24039 00026D35
	v_accvgpr_write_b32 a100, v56                              // 00000000974C: D3D94064 18000138
	v_accvgpr_write_b32 a101, v57                              // 000000009754: D3D94065 18000139
	s_nop 3                                                    // 00000000975C: BF800003
	v_mfma_f32_16x16x32_fp8_fp8 v[176:179], a[100:101], v[228:229], v[176:179]// 000000009760: D3F300B0 0EC3C964
	v_accvgpr_read_b32 v52, a115                               // 000000009768: D3D84034 18000173
	v_cvt_off_f32_i4_e32 v53, v52                              // 000000009770: 7E6A1D34
	v_cvt_off_f32_i4_sdwa v54, v52 dst_sel:DWORD dst_unused:UNUSED_PRESERVE src0_sel:BYTE_2// 000000009774: 7E6C1CF9 00021634
	v_cvt_pk_fp8_f32 v56, v53, v54                             // 00000000977C: D2A20038 00026D35
	v_cvt_off_f32_i4_sdwa v53, v52 dst_sel:DWORD dst_unused:UNUSED_PRESERVE src0_sel:BYTE_1// 000000009784: 7E6A1CF9 00011634
	v_cvt_off_f32_i4_sdwa v54, v52 dst_sel:DWORD dst_unused:UNUSED_PRESERVE src0_sel:BYTE_3// 00000000978C: 7E6C1CF9 00031634
	v_cvt_pk_fp8_f32 v57, v53, v54                             // 000000009794: D2A20039 00026D35
	v_lshrrev_b32_e32 v55, 4, v52                              // 00000000979C: 206E6884
	v_cvt_off_f32_i4_e32 v53, v55                              // 0000000097A0: 7E6A1D37
	v_cvt_off_f32_i4_sdwa v54, v55 dst_sel:DWORD dst_unused:UNUSED_PRESERVE src0_sel:BYTE_2// 0000000097A4: 7E6C1CF9 00021637
	v_cvt_pk_fp8_f32 v56, v53, v54 op_sel:[0,0,1]              // 0000000097AC: D2A24038 00026D35
	v_cvt_off_f32_i4_sdwa v53, v55 dst_sel:DWORD dst_unused:UNUSED_PRESERVE src0_sel:BYTE_1// 0000000097B4: 7E6A1CF9 00011637
	v_cvt_off_f32_i4_sdwa v54, v55 dst_sel:DWORD dst_unused:UNUSED_PRESERVE src0_sel:BYTE_3// 0000000097BC: 7E6C1CF9 00031637
	v_cvt_pk_fp8_f32 v57, v53, v54 op_sel:[0,0,1]              // 0000000097C4: D2A24039 00026D35
	v_accvgpr_write_b32 a102, v56                              // 0000000097CC: D3D94066 18000138
	v_accvgpr_write_b32 a103, v57                              // 0000000097D4: D3D94067 18000139
	s_nop 3                                                    // 0000000097DC: BF800003
	v_mfma_f32_16x16x32_fp8_fp8 v[176:179], a[102:103], v[230:231], v[176:179]// 0000000097E0: D3F300B0 0EC3CD66
	v_accvgpr_read_b32 v52, a116                               // 0000000097E8: D3D84034 18000174
	v_cvt_off_f32_i4_e32 v53, v52                              // 0000000097F0: 7E6A1D34
	v_cvt_off_f32_i4_sdwa v54, v52 dst_sel:DWORD dst_unused:UNUSED_PRESERVE src0_sel:BYTE_2// 0000000097F4: 7E6C1CF9 00021634
	v_cvt_pk_fp8_f32 v56, v53, v54                             // 0000000097FC: D2A20038 00026D35
	v_cvt_off_f32_i4_sdwa v53, v52 dst_sel:DWORD dst_unused:UNUSED_PRESERVE src0_sel:BYTE_1// 000000009804: 7E6A1CF9 00011634
	v_cvt_off_f32_i4_sdwa v54, v52 dst_sel:DWORD dst_unused:UNUSED_PRESERVE src0_sel:BYTE_3// 00000000980C: 7E6C1CF9 00031634
	v_cvt_pk_fp8_f32 v57, v53, v54                             // 000000009814: D2A20039 00026D35
	v_lshrrev_b32_e32 v55, 4, v52                              // 00000000981C: 206E6884
	v_cvt_off_f32_i4_e32 v53, v55                              // 000000009820: 7E6A1D37
	v_cvt_off_f32_i4_sdwa v54, v55 dst_sel:DWORD dst_unused:UNUSED_PRESERVE src0_sel:BYTE_2// 000000009824: 7E6C1CF9 00021637
	v_cvt_pk_fp8_f32 v56, v53, v54 op_sel:[0,0,1]              // 00000000982C: D2A24038 00026D35
	v_cvt_off_f32_i4_sdwa v53, v55 dst_sel:DWORD dst_unused:UNUSED_PRESERVE src0_sel:BYTE_1// 000000009834: 7E6A1CF9 00011637
	v_cvt_off_f32_i4_sdwa v54, v55 dst_sel:DWORD dst_unused:UNUSED_PRESERVE src0_sel:BYTE_3// 00000000983C: 7E6C1CF9 00031637
	v_cvt_pk_fp8_f32 v57, v53, v54 op_sel:[0,0,1]              // 000000009844: D2A24039 00026D35
	v_accvgpr_write_b32 a104, v56                              // 00000000984C: D3D94068 18000138
	v_accvgpr_write_b32 a105, v57                              // 000000009854: D3D94069 18000139
	s_nop 3                                                    // 00000000985C: BF800003
	v_mfma_f32_16x16x32_fp8_fp8 v[176:179], a[104:105], v[232:233], v[176:179]// 000000009860: D3F300B0 0EC3D168
	v_accvgpr_read_b32 v52, a117                               // 000000009868: D3D84034 18000175
	v_cvt_off_f32_i4_e32 v53, v52                              // 000000009870: 7E6A1D34
	v_cvt_off_f32_i4_sdwa v54, v52 dst_sel:DWORD dst_unused:UNUSED_PRESERVE src0_sel:BYTE_2// 000000009874: 7E6C1CF9 00021634
	v_cvt_pk_fp8_f32 v56, v53, v54                             // 00000000987C: D2A20038 00026D35
	v_cvt_off_f32_i4_sdwa v53, v52 dst_sel:DWORD dst_unused:UNUSED_PRESERVE src0_sel:BYTE_1// 000000009884: 7E6A1CF9 00011634
	v_cvt_off_f32_i4_sdwa v54, v52 dst_sel:DWORD dst_unused:UNUSED_PRESERVE src0_sel:BYTE_3// 00000000988C: 7E6C1CF9 00031634
	v_cvt_pk_fp8_f32 v57, v53, v54                             // 000000009894: D2A20039 00026D35
	v_lshrrev_b32_e32 v55, 4, v52                              // 00000000989C: 206E6884
	v_cvt_off_f32_i4_e32 v53, v55                              // 0000000098A0: 7E6A1D37
	v_cvt_off_f32_i4_sdwa v54, v55 dst_sel:DWORD dst_unused:UNUSED_PRESERVE src0_sel:BYTE_2// 0000000098A4: 7E6C1CF9 00021637
	v_cvt_pk_fp8_f32 v56, v53, v54 op_sel:[0,0,1]              // 0000000098AC: D2A24038 00026D35
	v_cvt_off_f32_i4_sdwa v53, v55 dst_sel:DWORD dst_unused:UNUSED_PRESERVE src0_sel:BYTE_1// 0000000098B4: 7E6A1CF9 00011637
	v_cvt_off_f32_i4_sdwa v54, v55 dst_sel:DWORD dst_unused:UNUSED_PRESERVE src0_sel:BYTE_3// 0000000098BC: 7E6C1CF9 00031637
	v_cvt_pk_fp8_f32 v57, v53, v54 op_sel:[0,0,1]              // 0000000098C4: D2A24039 00026D35
	v_accvgpr_write_b32 a106, v56                              // 0000000098CC: D3D9406A 18000138
	v_accvgpr_write_b32 a107, v57                              // 0000000098D4: D3D9406B 18000139
	s_nop 3                                                    // 0000000098DC: BF800003
	v_mfma_f32_16x16x32_fp8_fp8 v[176:179], a[106:107], v[234:235], v[176:179]// 0000000098E0: D3F300B0 0EC3D56A
	v_accvgpr_read_b32 v52, a118                               // 0000000098E8: D3D84034 18000176
	v_cvt_off_f32_i4_e32 v53, v52                              // 0000000098F0: 7E6A1D34
	v_cvt_off_f32_i4_sdwa v54, v52 dst_sel:DWORD dst_unused:UNUSED_PRESERVE src0_sel:BYTE_2// 0000000098F4: 7E6C1CF9 00021634
	v_cvt_pk_fp8_f32 v56, v53, v54                             // 0000000098FC: D2A20038 00026D35
	v_cvt_off_f32_i4_sdwa v53, v52 dst_sel:DWORD dst_unused:UNUSED_PRESERVE src0_sel:BYTE_1// 000000009904: 7E6A1CF9 00011634
	v_cvt_off_f32_i4_sdwa v54, v52 dst_sel:DWORD dst_unused:UNUSED_PRESERVE src0_sel:BYTE_3// 00000000990C: 7E6C1CF9 00031634
	v_cvt_pk_fp8_f32 v57, v53, v54                             // 000000009914: D2A20039 00026D35
	v_lshrrev_b32_e32 v55, 4, v52                              // 00000000991C: 206E6884
	v_cvt_off_f32_i4_e32 v53, v55                              // 000000009920: 7E6A1D37
	v_cvt_off_f32_i4_sdwa v54, v55 dst_sel:DWORD dst_unused:UNUSED_PRESERVE src0_sel:BYTE_2// 000000009924: 7E6C1CF9 00021637
	v_cvt_pk_fp8_f32 v56, v53, v54 op_sel:[0,0,1]              // 00000000992C: D2A24038 00026D35
	v_cvt_off_f32_i4_sdwa v53, v55 dst_sel:DWORD dst_unused:UNUSED_PRESERVE src0_sel:BYTE_1// 000000009934: 7E6A1CF9 00011637
	v_cvt_off_f32_i4_sdwa v54, v55 dst_sel:DWORD dst_unused:UNUSED_PRESERVE src0_sel:BYTE_3// 00000000993C: 7E6C1CF9 00031637
	v_cvt_pk_fp8_f32 v57, v53, v54 op_sel:[0,0,1]              // 000000009944: D2A24039 00026D35
	v_accvgpr_write_b32 a108, v56                              // 00000000994C: D3D9406C 18000138
	v_accvgpr_write_b32 a109, v57                              // 000000009954: D3D9406D 18000139
	s_nop 3                                                    // 00000000995C: BF800003
	v_mfma_f32_16x16x32_fp8_fp8 v[176:179], a[108:109], v[236:237], v[176:179]// 000000009960: D3F300B0 0EC3D96C
	v_accvgpr_read_b32 v52, a119                               // 000000009968: D3D84034 18000177
	v_cvt_off_f32_i4_e32 v53, v52                              // 000000009970: 7E6A1D34
	v_cvt_off_f32_i4_sdwa v54, v52 dst_sel:DWORD dst_unused:UNUSED_PRESERVE src0_sel:BYTE_2// 000000009974: 7E6C1CF9 00021634
	v_cvt_pk_fp8_f32 v56, v53, v54                             // 00000000997C: D2A20038 00026D35
	v_cvt_off_f32_i4_sdwa v53, v52 dst_sel:DWORD dst_unused:UNUSED_PRESERVE src0_sel:BYTE_1// 000000009984: 7E6A1CF9 00011634
	v_cvt_off_f32_i4_sdwa v54, v52 dst_sel:DWORD dst_unused:UNUSED_PRESERVE src0_sel:BYTE_3// 00000000998C: 7E6C1CF9 00031634
	v_cvt_pk_fp8_f32 v57, v53, v54                             // 000000009994: D2A20039 00026D35
	v_lshrrev_b32_e32 v55, 4, v52                              // 00000000999C: 206E6884
	v_cvt_off_f32_i4_e32 v53, v55                              // 0000000099A0: 7E6A1D37
	v_cvt_off_f32_i4_sdwa v54, v55 dst_sel:DWORD dst_unused:UNUSED_PRESERVE src0_sel:BYTE_2// 0000000099A4: 7E6C1CF9 00021637
	v_cvt_pk_fp8_f32 v56, v53, v54 op_sel:[0,0,1]              // 0000000099AC: D2A24038 00026D35
	v_cvt_off_f32_i4_sdwa v53, v55 dst_sel:DWORD dst_unused:UNUSED_PRESERVE src0_sel:BYTE_1// 0000000099B4: 7E6A1CF9 00011637
	v_cvt_off_f32_i4_sdwa v54, v55 dst_sel:DWORD dst_unused:UNUSED_PRESERVE src0_sel:BYTE_3// 0000000099BC: 7E6C1CF9 00031637
	v_cvt_pk_fp8_f32 v57, v53, v54 op_sel:[0,0,1]              // 0000000099C4: D2A24039 00026D35
	v_accvgpr_write_b32 a110, v56                              // 0000000099CC: D3D9406E 18000138
	v_accvgpr_write_b32 a111, v57                              // 0000000099D4: D3D9406F 18000139
	s_nop 3                                                    // 0000000099DC: BF800003
	v_mfma_f32_16x16x32_fp8_fp8 v[176:179], a[110:111], v[238:239], v[176:179]// 0000000099E0: D3F300B0 0EC3DD6E
	v_mfma_f32_16x16x32_fp8_fp8 v[180:183], a[96:97], v[240:241], v[180:183]// 0000000099E8: D3F300B4 0ED3E160
	v_mfma_f32_16x16x32_fp8_fp8 v[180:183], a[98:99], v[242:243], v[180:183]// 0000000099F0: D3F300B4 0ED3E562
	buffer_load_dwordx4 a[244:247], v40, s[92:95], 0 offen offset:1024// 0000000099F8: E05C1400 8097F428
	v_mfma_f32_16x16x32_fp8_fp8 v[180:183], a[100:101], v[244:245], v[180:183]// 000000009A00: D3F300B4 0ED3E964
	v_mfma_f32_16x16x32_fp8_fp8 v[180:183], a[102:103], v[246:247], v[180:183]// 000000009A08: D3F300B4 0ED3ED66
	v_mfma_f32_16x16x32_fp8_fp8 v[180:183], a[104:105], v[248:249], v[180:183]// 000000009A10: D3F300B4 0ED3F168
	v_mfma_f32_16x16x32_fp8_fp8 v[180:183], a[106:107], v[250:251], v[180:183]// 000000009A18: D3F300B4 0ED3F56A
	v_mfma_f32_16x16x32_fp8_fp8 v[180:183], a[108:109], v[252:253], v[180:183]// 000000009A20: D3F300B4 0ED3F96C
	v_mfma_f32_16x16x32_fp8_fp8 v[180:183], a[110:111], v[254:255], v[180:183]// 000000009A28: D3F300B4 0ED3FD6E
	s_waitcnt vmcnt(22)                                        // 000000009A30: BF8C4F76
	v_accvgpr_read_b32 v52, a120                               // 000000009A34: D3D84034 18000178
	v_cvt_off_f32_i4_e32 v53, v52                              // 000000009A3C: 7E6A1D34
	v_cvt_off_f32_i4_sdwa v54, v52 dst_sel:DWORD dst_unused:UNUSED_PRESERVE src0_sel:BYTE_2// 000000009A40: 7E6C1CF9 00021634
	v_cvt_pk_fp8_f32 v56, v53, v54                             // 000000009A48: D2A20038 00026D35
	v_cvt_off_f32_i4_sdwa v53, v52 dst_sel:DWORD dst_unused:UNUSED_PRESERVE src0_sel:BYTE_1// 000000009A50: 7E6A1CF9 00011634
	v_cvt_off_f32_i4_sdwa v54, v52 dst_sel:DWORD dst_unused:UNUSED_PRESERVE src0_sel:BYTE_3// 000000009A58: 7E6C1CF9 00031634
	v_cvt_pk_fp8_f32 v57, v53, v54                             // 000000009A60: D2A20039 00026D35
	v_lshrrev_b32_e32 v55, 4, v52                              // 000000009A68: 206E6884
	v_cvt_off_f32_i4_e32 v53, v55                              // 000000009A6C: 7E6A1D37
	v_cvt_off_f32_i4_sdwa v54, v55 dst_sel:DWORD dst_unused:UNUSED_PRESERVE src0_sel:BYTE_2// 000000009A70: 7E6C1CF9 00021637
	v_cvt_pk_fp8_f32 v56, v53, v54 op_sel:[0,0,1]              // 000000009A78: D2A24038 00026D35
	v_cvt_off_f32_i4_sdwa v53, v55 dst_sel:DWORD dst_unused:UNUSED_PRESERVE src0_sel:BYTE_1// 000000009A80: 7E6A1CF9 00011637
	v_cvt_off_f32_i4_sdwa v54, v55 dst_sel:DWORD dst_unused:UNUSED_PRESERVE src0_sel:BYTE_3// 000000009A88: 7E6C1CF9 00031637
	v_cvt_pk_fp8_f32 v57, v53, v54 op_sel:[0,0,1]              // 000000009A90: D2A24039 00026D35
	v_accvgpr_write_b32 a112, v56                              // 000000009A98: D3D94070 18000138
	v_accvgpr_write_b32 a113, v57                              // 000000009AA0: D3D94071 18000139
	s_nop 3                                                    // 000000009AA8: BF800003
	v_mfma_f32_16x16x32_fp8_fp8 v[184:187], a[112:113], v[224:225], v[184:187]// 000000009AAC: D3F300B8 0EE3C170
	v_accvgpr_read_b32 v52, a121                               // 000000009AB4: D3D84034 18000179
	v_cvt_off_f32_i4_e32 v53, v52                              // 000000009ABC: 7E6A1D34
	v_cvt_off_f32_i4_sdwa v54, v52 dst_sel:DWORD dst_unused:UNUSED_PRESERVE src0_sel:BYTE_2// 000000009AC0: 7E6C1CF9 00021634
	v_cvt_pk_fp8_f32 v56, v53, v54                             // 000000009AC8: D2A20038 00026D35
	v_cvt_off_f32_i4_sdwa v53, v52 dst_sel:DWORD dst_unused:UNUSED_PRESERVE src0_sel:BYTE_1// 000000009AD0: 7E6A1CF9 00011634
	v_cvt_off_f32_i4_sdwa v54, v52 dst_sel:DWORD dst_unused:UNUSED_PRESERVE src0_sel:BYTE_3// 000000009AD8: 7E6C1CF9 00031634
	v_cvt_pk_fp8_f32 v57, v53, v54                             // 000000009AE0: D2A20039 00026D35
	v_lshrrev_b32_e32 v55, 4, v52                              // 000000009AE8: 206E6884
	v_cvt_off_f32_i4_e32 v53, v55                              // 000000009AEC: 7E6A1D37
	v_cvt_off_f32_i4_sdwa v54, v55 dst_sel:DWORD dst_unused:UNUSED_PRESERVE src0_sel:BYTE_2// 000000009AF0: 7E6C1CF9 00021637
	v_cvt_pk_fp8_f32 v56, v53, v54 op_sel:[0,0,1]              // 000000009AF8: D2A24038 00026D35
	v_cvt_off_f32_i4_sdwa v53, v55 dst_sel:DWORD dst_unused:UNUSED_PRESERVE src0_sel:BYTE_1// 000000009B00: 7E6A1CF9 00011637
	v_cvt_off_f32_i4_sdwa v54, v55 dst_sel:DWORD dst_unused:UNUSED_PRESERVE src0_sel:BYTE_3// 000000009B08: 7E6C1CF9 00031637
	v_cvt_pk_fp8_f32 v57, v53, v54 op_sel:[0,0,1]              // 000000009B10: D2A24039 00026D35
	v_accvgpr_write_b32 a114, v56                              // 000000009B18: D3D94072 18000138
	v_accvgpr_write_b32 a115, v57                              // 000000009B20: D3D94073 18000139
	s_nop 3                                                    // 000000009B28: BF800003
	v_mfma_f32_16x16x32_fp8_fp8 v[184:187], a[114:115], v[226:227], v[184:187]// 000000009B2C: D3F300B8 0EE3C572
	buffer_load_dwordx4 a[248:251], v41, s[92:95], 0 offen     // 000000009B34: E05C1000 8097F829
	v_accvgpr_read_b32 v52, a122                               // 000000009B3C: D3D84034 1800017A
	v_cvt_off_f32_i4_e32 v53, v52                              // 000000009B44: 7E6A1D34
	v_cvt_off_f32_i4_sdwa v54, v52 dst_sel:DWORD dst_unused:UNUSED_PRESERVE src0_sel:BYTE_2// 000000009B48: 7E6C1CF9 00021634
	v_cvt_pk_fp8_f32 v56, v53, v54                             // 000000009B50: D2A20038 00026D35
	v_cvt_off_f32_i4_sdwa v53, v52 dst_sel:DWORD dst_unused:UNUSED_PRESERVE src0_sel:BYTE_1// 000000009B58: 7E6A1CF9 00011634
	v_cvt_off_f32_i4_sdwa v54, v52 dst_sel:DWORD dst_unused:UNUSED_PRESERVE src0_sel:BYTE_3// 000000009B60: 7E6C1CF9 00031634
	v_cvt_pk_fp8_f32 v57, v53, v54                             // 000000009B68: D2A20039 00026D35
	v_lshrrev_b32_e32 v55, 4, v52                              // 000000009B70: 206E6884
	v_cvt_off_f32_i4_e32 v53, v55                              // 000000009B74: 7E6A1D37
	v_cvt_off_f32_i4_sdwa v54, v55 dst_sel:DWORD dst_unused:UNUSED_PRESERVE src0_sel:BYTE_2// 000000009B78: 7E6C1CF9 00021637
	v_cvt_pk_fp8_f32 v56, v53, v54 op_sel:[0,0,1]              // 000000009B80: D2A24038 00026D35
	v_cvt_off_f32_i4_sdwa v53, v55 dst_sel:DWORD dst_unused:UNUSED_PRESERVE src0_sel:BYTE_1// 000000009B88: 7E6A1CF9 00011637
	v_cvt_off_f32_i4_sdwa v54, v55 dst_sel:DWORD dst_unused:UNUSED_PRESERVE src0_sel:BYTE_3// 000000009B90: 7E6C1CF9 00031637
	v_cvt_pk_fp8_f32 v57, v53, v54 op_sel:[0,0,1]              // 000000009B98: D2A24039 00026D35
	v_accvgpr_write_b32 a116, v56                              // 000000009BA0: D3D94074 18000138
	v_accvgpr_write_b32 a117, v57                              // 000000009BA8: D3D94075 18000139
	s_nop 3                                                    // 000000009BB0: BF800003
	v_mfma_f32_16x16x32_fp8_fp8 v[184:187], a[116:117], v[228:229], v[184:187]// 000000009BB4: D3F300B8 0EE3C974
	v_accvgpr_read_b32 v52, a123                               // 000000009BBC: D3D84034 1800017B
	v_cvt_off_f32_i4_e32 v53, v52                              // 000000009BC4: 7E6A1D34
	v_cvt_off_f32_i4_sdwa v54, v52 dst_sel:DWORD dst_unused:UNUSED_PRESERVE src0_sel:BYTE_2// 000000009BC8: 7E6C1CF9 00021634
	v_cvt_pk_fp8_f32 v56, v53, v54                             // 000000009BD0: D2A20038 00026D35
	v_cvt_off_f32_i4_sdwa v53, v52 dst_sel:DWORD dst_unused:UNUSED_PRESERVE src0_sel:BYTE_1// 000000009BD8: 7E6A1CF9 00011634
	v_cvt_off_f32_i4_sdwa v54, v52 dst_sel:DWORD dst_unused:UNUSED_PRESERVE src0_sel:BYTE_3// 000000009BE0: 7E6C1CF9 00031634
	v_cvt_pk_fp8_f32 v57, v53, v54                             // 000000009BE8: D2A20039 00026D35
	v_lshrrev_b32_e32 v55, 4, v52                              // 000000009BF0: 206E6884
	v_cvt_off_f32_i4_e32 v53, v55                              // 000000009BF4: 7E6A1D37
	v_cvt_off_f32_i4_sdwa v54, v55 dst_sel:DWORD dst_unused:UNUSED_PRESERVE src0_sel:BYTE_2// 000000009BF8: 7E6C1CF9 00021637
	v_cvt_pk_fp8_f32 v56, v53, v54 op_sel:[0,0,1]              // 000000009C00: D2A24038 00026D35
	v_cvt_off_f32_i4_sdwa v53, v55 dst_sel:DWORD dst_unused:UNUSED_PRESERVE src0_sel:BYTE_1// 000000009C08: 7E6A1CF9 00011637
	v_cvt_off_f32_i4_sdwa v54, v55 dst_sel:DWORD dst_unused:UNUSED_PRESERVE src0_sel:BYTE_3// 000000009C10: 7E6C1CF9 00031637
	v_cvt_pk_fp8_f32 v57, v53, v54 op_sel:[0,0,1]              // 000000009C18: D2A24039 00026D35
	v_accvgpr_write_b32 a118, v56                              // 000000009C20: D3D94076 18000138
	v_accvgpr_write_b32 a119, v57                              // 000000009C28: D3D94077 18000139
	s_nop 3                                                    // 000000009C30: BF800003
	v_mfma_f32_16x16x32_fp8_fp8 v[184:187], a[118:119], v[230:231], v[184:187]// 000000009C34: D3F300B8 0EE3CD76
	v_accvgpr_read_b32 v52, a124                               // 000000009C3C: D3D84034 1800017C
	v_cvt_off_f32_i4_e32 v53, v52                              // 000000009C44: 7E6A1D34
	v_cvt_off_f32_i4_sdwa v54, v52 dst_sel:DWORD dst_unused:UNUSED_PRESERVE src0_sel:BYTE_2// 000000009C48: 7E6C1CF9 00021634
	v_cvt_pk_fp8_f32 v56, v53, v54                             // 000000009C50: D2A20038 00026D35
	v_cvt_off_f32_i4_sdwa v53, v52 dst_sel:DWORD dst_unused:UNUSED_PRESERVE src0_sel:BYTE_1// 000000009C58: 7E6A1CF9 00011634
	v_cvt_off_f32_i4_sdwa v54, v52 dst_sel:DWORD dst_unused:UNUSED_PRESERVE src0_sel:BYTE_3// 000000009C60: 7E6C1CF9 00031634
	v_cvt_pk_fp8_f32 v57, v53, v54                             // 000000009C68: D2A20039 00026D35
	v_lshrrev_b32_e32 v55, 4, v52                              // 000000009C70: 206E6884
	v_cvt_off_f32_i4_e32 v53, v55                              // 000000009C74: 7E6A1D37
	v_cvt_off_f32_i4_sdwa v54, v55 dst_sel:DWORD dst_unused:UNUSED_PRESERVE src0_sel:BYTE_2// 000000009C78: 7E6C1CF9 00021637
	v_cvt_pk_fp8_f32 v56, v53, v54 op_sel:[0,0,1]              // 000000009C80: D2A24038 00026D35
	v_cvt_off_f32_i4_sdwa v53, v55 dst_sel:DWORD dst_unused:UNUSED_PRESERVE src0_sel:BYTE_1// 000000009C88: 7E6A1CF9 00011637
	v_cvt_off_f32_i4_sdwa v54, v55 dst_sel:DWORD dst_unused:UNUSED_PRESERVE src0_sel:BYTE_3// 000000009C90: 7E6C1CF9 00031637
	v_cvt_pk_fp8_f32 v57, v53, v54 op_sel:[0,0,1]              // 000000009C98: D2A24039 00026D35
	v_accvgpr_write_b32 a120, v56                              // 000000009CA0: D3D94078 18000138
	v_accvgpr_write_b32 a121, v57                              // 000000009CA8: D3D94079 18000139
	s_nop 3                                                    // 000000009CB0: BF800003
	v_mfma_f32_16x16x32_fp8_fp8 v[184:187], a[120:121], v[232:233], v[184:187]// 000000009CB4: D3F300B8 0EE3D178
	v_accvgpr_read_b32 v52, a125                               // 000000009CBC: D3D84034 1800017D
	v_cvt_off_f32_i4_e32 v53, v52                              // 000000009CC4: 7E6A1D34
	v_cvt_off_f32_i4_sdwa v54, v52 dst_sel:DWORD dst_unused:UNUSED_PRESERVE src0_sel:BYTE_2// 000000009CC8: 7E6C1CF9 00021634
	v_cvt_pk_fp8_f32 v56, v53, v54                             // 000000009CD0: D2A20038 00026D35
	v_cvt_off_f32_i4_sdwa v53, v52 dst_sel:DWORD dst_unused:UNUSED_PRESERVE src0_sel:BYTE_1// 000000009CD8: 7E6A1CF9 00011634
	v_cvt_off_f32_i4_sdwa v54, v52 dst_sel:DWORD dst_unused:UNUSED_PRESERVE src0_sel:BYTE_3// 000000009CE0: 7E6C1CF9 00031634
	v_cvt_pk_fp8_f32 v57, v53, v54                             // 000000009CE8: D2A20039 00026D35
	v_lshrrev_b32_e32 v55, 4, v52                              // 000000009CF0: 206E6884
	v_cvt_off_f32_i4_e32 v53, v55                              // 000000009CF4: 7E6A1D37
	v_cvt_off_f32_i4_sdwa v54, v55 dst_sel:DWORD dst_unused:UNUSED_PRESERVE src0_sel:BYTE_2// 000000009CF8: 7E6C1CF9 00021637
	v_cvt_pk_fp8_f32 v56, v53, v54 op_sel:[0,0,1]              // 000000009D00: D2A24038 00026D35
	v_cvt_off_f32_i4_sdwa v53, v55 dst_sel:DWORD dst_unused:UNUSED_PRESERVE src0_sel:BYTE_1// 000000009D08: 7E6A1CF9 00011637
	v_cvt_off_f32_i4_sdwa v54, v55 dst_sel:DWORD dst_unused:UNUSED_PRESERVE src0_sel:BYTE_3// 000000009D10: 7E6C1CF9 00031637
	v_cvt_pk_fp8_f32 v57, v53, v54 op_sel:[0,0,1]              // 000000009D18: D2A24039 00026D35
	v_accvgpr_write_b32 a122, v56                              // 000000009D20: D3D9407A 18000138
	v_accvgpr_write_b32 a123, v57                              // 000000009D28: D3D9407B 18000139
	s_nop 3                                                    // 000000009D30: BF800003
	v_mfma_f32_16x16x32_fp8_fp8 v[184:187], a[122:123], v[234:235], v[184:187]// 000000009D34: D3F300B8 0EE3D57A
	v_accvgpr_read_b32 v52, a126                               // 000000009D3C: D3D84034 1800017E
	v_cvt_off_f32_i4_e32 v53, v52                              // 000000009D44: 7E6A1D34
	v_cvt_off_f32_i4_sdwa v54, v52 dst_sel:DWORD dst_unused:UNUSED_PRESERVE src0_sel:BYTE_2// 000000009D48: 7E6C1CF9 00021634
	v_cvt_pk_fp8_f32 v56, v53, v54                             // 000000009D50: D2A20038 00026D35
	v_cvt_off_f32_i4_sdwa v53, v52 dst_sel:DWORD dst_unused:UNUSED_PRESERVE src0_sel:BYTE_1// 000000009D58: 7E6A1CF9 00011634
	v_cvt_off_f32_i4_sdwa v54, v52 dst_sel:DWORD dst_unused:UNUSED_PRESERVE src0_sel:BYTE_3// 000000009D60: 7E6C1CF9 00031634
	v_cvt_pk_fp8_f32 v57, v53, v54                             // 000000009D68: D2A20039 00026D35
	v_lshrrev_b32_e32 v55, 4, v52                              // 000000009D70: 206E6884
	v_cvt_off_f32_i4_e32 v53, v55                              // 000000009D74: 7E6A1D37
	v_cvt_off_f32_i4_sdwa v54, v55 dst_sel:DWORD dst_unused:UNUSED_PRESERVE src0_sel:BYTE_2// 000000009D78: 7E6C1CF9 00021637
	v_cvt_pk_fp8_f32 v56, v53, v54 op_sel:[0,0,1]              // 000000009D80: D2A24038 00026D35
	v_cvt_off_f32_i4_sdwa v53, v55 dst_sel:DWORD dst_unused:UNUSED_PRESERVE src0_sel:BYTE_1// 000000009D88: 7E6A1CF9 00011637
	v_cvt_off_f32_i4_sdwa v54, v55 dst_sel:DWORD dst_unused:UNUSED_PRESERVE src0_sel:BYTE_3// 000000009D90: 7E6C1CF9 00031637
	v_cvt_pk_fp8_f32 v57, v53, v54 op_sel:[0,0,1]              // 000000009D98: D2A24039 00026D35
	v_accvgpr_write_b32 a124, v56                              // 000000009DA0: D3D9407C 18000138
	v_accvgpr_write_b32 a125, v57                              // 000000009DA8: D3D9407D 18000139
	s_nop 3                                                    // 000000009DB0: BF800003
	v_mfma_f32_16x16x32_fp8_fp8 v[184:187], a[124:125], v[236:237], v[184:187]// 000000009DB4: D3F300B8 0EE3D97C
	v_accvgpr_read_b32 v52, a127                               // 000000009DBC: D3D84034 1800017F
	v_cvt_off_f32_i4_e32 v53, v52                              // 000000009DC4: 7E6A1D34
	v_cvt_off_f32_i4_sdwa v54, v52 dst_sel:DWORD dst_unused:UNUSED_PRESERVE src0_sel:BYTE_2// 000000009DC8: 7E6C1CF9 00021634
	v_cvt_pk_fp8_f32 v56, v53, v54                             // 000000009DD0: D2A20038 00026D35
	v_cvt_off_f32_i4_sdwa v53, v52 dst_sel:DWORD dst_unused:UNUSED_PRESERVE src0_sel:BYTE_1// 000000009DD8: 7E6A1CF9 00011634
	v_cvt_off_f32_i4_sdwa v54, v52 dst_sel:DWORD dst_unused:UNUSED_PRESERVE src0_sel:BYTE_3// 000000009DE0: 7E6C1CF9 00031634
	v_cvt_pk_fp8_f32 v57, v53, v54                             // 000000009DE8: D2A20039 00026D35
	v_lshrrev_b32_e32 v55, 4, v52                              // 000000009DF0: 206E6884
	v_cvt_off_f32_i4_e32 v53, v55                              // 000000009DF4: 7E6A1D37
	v_cvt_off_f32_i4_sdwa v54, v55 dst_sel:DWORD dst_unused:UNUSED_PRESERVE src0_sel:BYTE_2// 000000009DF8: 7E6C1CF9 00021637
	v_cvt_pk_fp8_f32 v56, v53, v54 op_sel:[0,0,1]              // 000000009E00: D2A24038 00026D35
	v_cvt_off_f32_i4_sdwa v53, v55 dst_sel:DWORD dst_unused:UNUSED_PRESERVE src0_sel:BYTE_1// 000000009E08: 7E6A1CF9 00011637
	v_cvt_off_f32_i4_sdwa v54, v55 dst_sel:DWORD dst_unused:UNUSED_PRESERVE src0_sel:BYTE_3// 000000009E10: 7E6C1CF9 00031637
	v_cvt_pk_fp8_f32 v57, v53, v54 op_sel:[0,0,1]              // 000000009E18: D2A24039 00026D35
	v_accvgpr_write_b32 a126, v56                              // 000000009E20: D3D9407E 18000138
	v_accvgpr_write_b32 a127, v57                              // 000000009E28: D3D9407F 18000139
	s_nop 3                                                    // 000000009E30: BF800003
	v_mfma_f32_16x16x32_fp8_fp8 v[184:187], a[126:127], v[238:239], v[184:187]// 000000009E34: D3F300B8 0EE3DD7E
	v_mfma_f32_16x16x32_fp8_fp8 v[188:191], a[112:113], v[240:241], v[188:191]// 000000009E3C: D3F300BC 0EF3E170
	v_mfma_f32_16x16x32_fp8_fp8 v[188:191], a[114:115], v[242:243], v[188:191]// 000000009E44: D3F300BC 0EF3E572
	buffer_load_dwordx4 a[252:255], v41, s[92:95], 0 offen offset:1024// 000000009E4C: E05C1400 8097FC29
	v_mfma_f32_16x16x32_fp8_fp8 v[188:191], a[116:117], v[244:245], v[188:191]// 000000009E54: D3F300BC 0EF3E974
	v_mfma_f32_16x16x32_fp8_fp8 v[188:191], a[118:119], v[246:247], v[188:191]// 000000009E5C: D3F300BC 0EF3ED76
	v_mfma_f32_16x16x32_fp8_fp8 v[188:191], a[120:121], v[248:249], v[188:191]// 000000009E64: D3F300BC 0EF3F178
	v_mfma_f32_16x16x32_fp8_fp8 v[188:191], a[122:123], v[250:251], v[188:191]// 000000009E6C: D3F300BC 0EF3F57A
	v_mfma_f32_16x16x32_fp8_fp8 v[188:191], a[124:125], v[252:253], v[188:191]// 000000009E74: D3F300BC 0EF3F97C
	v_mfma_f32_16x16x32_fp8_fp8 v[188:191], a[126:127], v[254:255], v[188:191]// 000000009E7C: D3F300BC 0EF3FD7E
	s_waitcnt vmcnt(12)                                        // 000000009E84: BF8C0F7C
	s_barrier                                                  // 000000009E88: BF8A0000
	v_accvgpr_read_b32 v52, a192                               // 000000009E8C: D3D84034 180001C0
	v_cvt_off_f32_i4_e32 v53, v52                              // 000000009E94: 7E6A1D34
	v_cvt_off_f32_i4_sdwa v54, v52 dst_sel:DWORD dst_unused:UNUSED_PRESERVE src0_sel:BYTE_2// 000000009E98: 7E6C1CF9 00021634
	v_cvt_pk_fp8_f32 v56, v53, v54                             // 000000009EA0: D2A20038 00026D35
	v_cvt_off_f32_i4_sdwa v53, v52 dst_sel:DWORD dst_unused:UNUSED_PRESERVE src0_sel:BYTE_1// 000000009EA8: 7E6A1CF9 00011634
	v_cvt_off_f32_i4_sdwa v54, v52 dst_sel:DWORD dst_unused:UNUSED_PRESERVE src0_sel:BYTE_3// 000000009EB0: 7E6C1CF9 00031634
	v_cvt_pk_fp8_f32 v57, v53, v54                             // 000000009EB8: D2A20039 00026D35
	v_lshrrev_b32_e32 v55, 4, v52                              // 000000009EC0: 206E6884
	v_cvt_off_f32_i4_e32 v53, v55                              // 000000009EC4: 7E6A1D37
	v_cvt_off_f32_i4_sdwa v54, v55 dst_sel:DWORD dst_unused:UNUSED_PRESERVE src0_sel:BYTE_2// 000000009EC8: 7E6C1CF9 00021637
	v_cvt_pk_fp8_f32 v56, v53, v54 op_sel:[0,0,1]              // 000000009ED0: D2A24038 00026D35
	v_cvt_off_f32_i4_sdwa v53, v55 dst_sel:DWORD dst_unused:UNUSED_PRESERVE src0_sel:BYTE_1// 000000009ED8: 7E6A1CF9 00011637
	v_cvt_off_f32_i4_sdwa v54, v55 dst_sel:DWORD dst_unused:UNUSED_PRESERVE src0_sel:BYTE_3// 000000009EE0: 7E6C1CF9 00031637
	v_cvt_pk_fp8_f32 v57, v53, v54 op_sel:[0,0,1]              // 000000009EE8: D2A24039 00026D35
	v_accvgpr_write_b32 a128, v56                              // 000000009EF0: D3D94080 18000138
	v_accvgpr_write_b32 a129, v57                              // 000000009EF8: D3D94081 18000139
	s_nop 3                                                    // 000000009F00: BF800003
	v_mfma_f32_16x16x32_fp8_fp8 v[64:67], a[128:129], v[224:225], v[64:67]// 000000009F04: D3F30040 0D03C180
	v_accvgpr_read_b32 v52, a193                               // 000000009F0C: D3D84034 180001C1
	v_cvt_off_f32_i4_e32 v53, v52                              // 000000009F14: 7E6A1D34
	v_cvt_off_f32_i4_sdwa v54, v52 dst_sel:DWORD dst_unused:UNUSED_PRESERVE src0_sel:BYTE_2// 000000009F18: 7E6C1CF9 00021634
	v_cvt_pk_fp8_f32 v56, v53, v54                             // 000000009F20: D2A20038 00026D35
	v_cvt_off_f32_i4_sdwa v53, v52 dst_sel:DWORD dst_unused:UNUSED_PRESERVE src0_sel:BYTE_1// 000000009F28: 7E6A1CF9 00011634
	v_cvt_off_f32_i4_sdwa v54, v52 dst_sel:DWORD dst_unused:UNUSED_PRESERVE src0_sel:BYTE_3// 000000009F30: 7E6C1CF9 00031634
	v_cvt_pk_fp8_f32 v57, v53, v54                             // 000000009F38: D2A20039 00026D35
	v_lshrrev_b32_e32 v55, 4, v52                              // 000000009F40: 206E6884
	v_cvt_off_f32_i4_e32 v53, v55                              // 000000009F44: 7E6A1D37
	v_cvt_off_f32_i4_sdwa v54, v55 dst_sel:DWORD dst_unused:UNUSED_PRESERVE src0_sel:BYTE_2// 000000009F48: 7E6C1CF9 00021637
	v_cvt_pk_fp8_f32 v56, v53, v54 op_sel:[0,0,1]              // 000000009F50: D2A24038 00026D35
	v_cvt_off_f32_i4_sdwa v53, v55 dst_sel:DWORD dst_unused:UNUSED_PRESERVE src0_sel:BYTE_1// 000000009F58: 7E6A1CF9 00011637
	v_cvt_off_f32_i4_sdwa v54, v55 dst_sel:DWORD dst_unused:UNUSED_PRESERVE src0_sel:BYTE_3// 000000009F60: 7E6C1CF9 00031637
	v_cvt_pk_fp8_f32 v57, v53, v54 op_sel:[0,0,1]              // 000000009F68: D2A24039 00026D35
	v_accvgpr_write_b32 a130, v56                              // 000000009F70: D3D94082 18000138
	v_accvgpr_write_b32 a131, v57                              // 000000009F78: D3D94083 18000139
	s_nop 3                                                    // 000000009F80: BF800003
	v_mfma_f32_16x16x32_fp8_fp8 v[64:67], a[130:131], v[226:227], v[64:67]// 000000009F84: D3F30040 0D03C582
	buffer_load_dwordx4 a[64:67], v34, s[24:27], 0 offen       // 000000009F8C: E05C1000 80864022
	v_accvgpr_read_b32 v52, a194                               // 000000009F94: D3D84034 180001C2
	v_cvt_off_f32_i4_e32 v53, v52                              // 000000009F9C: 7E6A1D34
	v_cvt_off_f32_i4_sdwa v54, v52 dst_sel:DWORD dst_unused:UNUSED_PRESERVE src0_sel:BYTE_2// 000000009FA0: 7E6C1CF9 00021634
	v_cvt_pk_fp8_f32 v56, v53, v54                             // 000000009FA8: D2A20038 00026D35
	v_cvt_off_f32_i4_sdwa v53, v52 dst_sel:DWORD dst_unused:UNUSED_PRESERVE src0_sel:BYTE_1// 000000009FB0: 7E6A1CF9 00011634
	v_cvt_off_f32_i4_sdwa v54, v52 dst_sel:DWORD dst_unused:UNUSED_PRESERVE src0_sel:BYTE_3// 000000009FB8: 7E6C1CF9 00031634
	v_cvt_pk_fp8_f32 v57, v53, v54                             // 000000009FC0: D2A20039 00026D35
	v_lshrrev_b32_e32 v55, 4, v52                              // 000000009FC8: 206E6884
	v_cvt_off_f32_i4_e32 v53, v55                              // 000000009FCC: 7E6A1D37
	v_cvt_off_f32_i4_sdwa v54, v55 dst_sel:DWORD dst_unused:UNUSED_PRESERVE src0_sel:BYTE_2// 000000009FD0: 7E6C1CF9 00021637
	v_cvt_pk_fp8_f32 v56, v53, v54 op_sel:[0,0,1]              // 000000009FD8: D2A24038 00026D35
	v_cvt_off_f32_i4_sdwa v53, v55 dst_sel:DWORD dst_unused:UNUSED_PRESERVE src0_sel:BYTE_1// 000000009FE0: 7E6A1CF9 00011637
	v_cvt_off_f32_i4_sdwa v54, v55 dst_sel:DWORD dst_unused:UNUSED_PRESERVE src0_sel:BYTE_3// 000000009FE8: 7E6C1CF9 00031637
	v_cvt_pk_fp8_f32 v57, v53, v54 op_sel:[0,0,1]              // 000000009FF0: D2A24039 00026D35
	v_accvgpr_write_b32 a132, v56                              // 000000009FF8: D3D94084 18000138
	v_accvgpr_write_b32 a133, v57                              // 00000000A000: D3D94085 18000139
	s_nop 3                                                    // 00000000A008: BF800003
	v_mfma_f32_16x16x32_fp8_fp8 v[64:67], a[132:133], v[228:229], v[64:67]// 00000000A00C: D3F30040 0D03C984
	v_accvgpr_read_b32 v52, a195                               // 00000000A014: D3D84034 180001C3
	v_cvt_off_f32_i4_e32 v53, v52                              // 00000000A01C: 7E6A1D34
	v_cvt_off_f32_i4_sdwa v54, v52 dst_sel:DWORD dst_unused:UNUSED_PRESERVE src0_sel:BYTE_2// 00000000A020: 7E6C1CF9 00021634
	v_cvt_pk_fp8_f32 v56, v53, v54                             // 00000000A028: D2A20038 00026D35
	v_cvt_off_f32_i4_sdwa v53, v52 dst_sel:DWORD dst_unused:UNUSED_PRESERVE src0_sel:BYTE_1// 00000000A030: 7E6A1CF9 00011634
	v_cvt_off_f32_i4_sdwa v54, v52 dst_sel:DWORD dst_unused:UNUSED_PRESERVE src0_sel:BYTE_3// 00000000A038: 7E6C1CF9 00031634
	v_cvt_pk_fp8_f32 v57, v53, v54                             // 00000000A040: D2A20039 00026D35
	v_lshrrev_b32_e32 v55, 4, v52                              // 00000000A048: 206E6884
	v_cvt_off_f32_i4_e32 v53, v55                              // 00000000A04C: 7E6A1D37
	v_cvt_off_f32_i4_sdwa v54, v55 dst_sel:DWORD dst_unused:UNUSED_PRESERVE src0_sel:BYTE_2// 00000000A050: 7E6C1CF9 00021637
	v_cvt_pk_fp8_f32 v56, v53, v54 op_sel:[0,0,1]              // 00000000A058: D2A24038 00026D35
	v_cvt_off_f32_i4_sdwa v53, v55 dst_sel:DWORD dst_unused:UNUSED_PRESERVE src0_sel:BYTE_1// 00000000A060: 7E6A1CF9 00011637
	v_cvt_off_f32_i4_sdwa v54, v55 dst_sel:DWORD dst_unused:UNUSED_PRESERVE src0_sel:BYTE_3// 00000000A068: 7E6C1CF9 00031637
	v_cvt_pk_fp8_f32 v57, v53, v54 op_sel:[0,0,1]              // 00000000A070: D2A24039 00026D35
	v_accvgpr_write_b32 a134, v56                              // 00000000A078: D3D94086 18000138
	v_accvgpr_write_b32 a135, v57                              // 00000000A080: D3D94087 18000139
	s_nop 3                                                    // 00000000A088: BF800003
	v_mfma_f32_16x16x32_fp8_fp8 v[64:67], a[134:135], v[230:231], v[64:67]// 00000000A08C: D3F30040 0D03CD86
	v_accvgpr_read_b32 v52, a196                               // 00000000A094: D3D84034 180001C4
	v_cvt_off_f32_i4_e32 v53, v52                              // 00000000A09C: 7E6A1D34
	v_cvt_off_f32_i4_sdwa v54, v52 dst_sel:DWORD dst_unused:UNUSED_PRESERVE src0_sel:BYTE_2// 00000000A0A0: 7E6C1CF9 00021634
	v_cvt_pk_fp8_f32 v56, v53, v54                             // 00000000A0A8: D2A20038 00026D35
	v_cvt_off_f32_i4_sdwa v53, v52 dst_sel:DWORD dst_unused:UNUSED_PRESERVE src0_sel:BYTE_1// 00000000A0B0: 7E6A1CF9 00011634
	v_cvt_off_f32_i4_sdwa v54, v52 dst_sel:DWORD dst_unused:UNUSED_PRESERVE src0_sel:BYTE_3// 00000000A0B8: 7E6C1CF9 00031634
	v_cvt_pk_fp8_f32 v57, v53, v54                             // 00000000A0C0: D2A20039 00026D35
	v_lshrrev_b32_e32 v55, 4, v52                              // 00000000A0C8: 206E6884
	v_cvt_off_f32_i4_e32 v53, v55                              // 00000000A0CC: 7E6A1D37
	v_cvt_off_f32_i4_sdwa v54, v55 dst_sel:DWORD dst_unused:UNUSED_PRESERVE src0_sel:BYTE_2// 00000000A0D0: 7E6C1CF9 00021637
	v_cvt_pk_fp8_f32 v56, v53, v54 op_sel:[0,0,1]              // 00000000A0D8: D2A24038 00026D35
	v_cvt_off_f32_i4_sdwa v53, v55 dst_sel:DWORD dst_unused:UNUSED_PRESERVE src0_sel:BYTE_1// 00000000A0E0: 7E6A1CF9 00011637
	v_cvt_off_f32_i4_sdwa v54, v55 dst_sel:DWORD dst_unused:UNUSED_PRESERVE src0_sel:BYTE_3// 00000000A0E8: 7E6C1CF9 00031637
	v_cvt_pk_fp8_f32 v57, v53, v54 op_sel:[0,0,1]              // 00000000A0F0: D2A24039 00026D35
	v_accvgpr_write_b32 a136, v56                              // 00000000A0F8: D3D94088 18000138
	v_accvgpr_write_b32 a137, v57                              // 00000000A100: D3D94089 18000139
	s_nop 3                                                    // 00000000A108: BF800003
	v_mfma_f32_16x16x32_fp8_fp8 v[64:67], a[136:137], v[232:233], v[64:67]// 00000000A10C: D3F30040 0D03D188
	v_accvgpr_read_b32 v52, a197                               // 00000000A114: D3D84034 180001C5
	v_cvt_off_f32_i4_e32 v53, v52                              // 00000000A11C: 7E6A1D34
	v_cvt_off_f32_i4_sdwa v54, v52 dst_sel:DWORD dst_unused:UNUSED_PRESERVE src0_sel:BYTE_2// 00000000A120: 7E6C1CF9 00021634
	v_cvt_pk_fp8_f32 v56, v53, v54                             // 00000000A128: D2A20038 00026D35
	v_cvt_off_f32_i4_sdwa v53, v52 dst_sel:DWORD dst_unused:UNUSED_PRESERVE src0_sel:BYTE_1// 00000000A130: 7E6A1CF9 00011634
	v_cvt_off_f32_i4_sdwa v54, v52 dst_sel:DWORD dst_unused:UNUSED_PRESERVE src0_sel:BYTE_3// 00000000A138: 7E6C1CF9 00031634
	v_cvt_pk_fp8_f32 v57, v53, v54                             // 00000000A140: D2A20039 00026D35
	v_lshrrev_b32_e32 v55, 4, v52                              // 00000000A148: 206E6884
	v_cvt_off_f32_i4_e32 v53, v55                              // 00000000A14C: 7E6A1D37
	v_cvt_off_f32_i4_sdwa v54, v55 dst_sel:DWORD dst_unused:UNUSED_PRESERVE src0_sel:BYTE_2// 00000000A150: 7E6C1CF9 00021637
	v_cvt_pk_fp8_f32 v56, v53, v54 op_sel:[0,0,1]              // 00000000A158: D2A24038 00026D35
	v_cvt_off_f32_i4_sdwa v53, v55 dst_sel:DWORD dst_unused:UNUSED_PRESERVE src0_sel:BYTE_1// 00000000A160: 7E6A1CF9 00011637
	v_cvt_off_f32_i4_sdwa v54, v55 dst_sel:DWORD dst_unused:UNUSED_PRESERVE src0_sel:BYTE_3// 00000000A168: 7E6C1CF9 00031637
	v_cvt_pk_fp8_f32 v57, v53, v54 op_sel:[0,0,1]              // 00000000A170: D2A24039 00026D35
	v_accvgpr_write_b32 a138, v56                              // 00000000A178: D3D9408A 18000138
	v_accvgpr_write_b32 a139, v57                              // 00000000A180: D3D9408B 18000139
	s_nop 3                                                    // 00000000A188: BF800003
	v_mfma_f32_16x16x32_fp8_fp8 v[64:67], a[138:139], v[234:235], v[64:67]// 00000000A18C: D3F30040 0D03D58A
	v_accvgpr_read_b32 v52, a198                               // 00000000A194: D3D84034 180001C6
	v_cvt_off_f32_i4_e32 v53, v52                              // 00000000A19C: 7E6A1D34
	v_cvt_off_f32_i4_sdwa v54, v52 dst_sel:DWORD dst_unused:UNUSED_PRESERVE src0_sel:BYTE_2// 00000000A1A0: 7E6C1CF9 00021634
	v_cvt_pk_fp8_f32 v56, v53, v54                             // 00000000A1A8: D2A20038 00026D35
	v_cvt_off_f32_i4_sdwa v53, v52 dst_sel:DWORD dst_unused:UNUSED_PRESERVE src0_sel:BYTE_1// 00000000A1B0: 7E6A1CF9 00011634
	v_cvt_off_f32_i4_sdwa v54, v52 dst_sel:DWORD dst_unused:UNUSED_PRESERVE src0_sel:BYTE_3// 00000000A1B8: 7E6C1CF9 00031634
	v_cvt_pk_fp8_f32 v57, v53, v54                             // 00000000A1C0: D2A20039 00026D35
	v_lshrrev_b32_e32 v55, 4, v52                              // 00000000A1C8: 206E6884
	v_cvt_off_f32_i4_e32 v53, v55                              // 00000000A1CC: 7E6A1D37
	v_cvt_off_f32_i4_sdwa v54, v55 dst_sel:DWORD dst_unused:UNUSED_PRESERVE src0_sel:BYTE_2// 00000000A1D0: 7E6C1CF9 00021637
	v_cvt_pk_fp8_f32 v56, v53, v54 op_sel:[0,0,1]              // 00000000A1D8: D2A24038 00026D35
	v_cvt_off_f32_i4_sdwa v53, v55 dst_sel:DWORD dst_unused:UNUSED_PRESERVE src0_sel:BYTE_1// 00000000A1E0: 7E6A1CF9 00011637
	v_cvt_off_f32_i4_sdwa v54, v55 dst_sel:DWORD dst_unused:UNUSED_PRESERVE src0_sel:BYTE_3// 00000000A1E8: 7E6C1CF9 00031637
	v_cvt_pk_fp8_f32 v57, v53, v54 op_sel:[0,0,1]              // 00000000A1F0: D2A24039 00026D35
	v_accvgpr_write_b32 a140, v56                              // 00000000A1F8: D3D9408C 18000138
	v_accvgpr_write_b32 a141, v57                              // 00000000A200: D3D9408D 18000139
	s_nop 3                                                    // 00000000A208: BF800003
	v_mfma_f32_16x16x32_fp8_fp8 v[64:67], a[140:141], v[236:237], v[64:67]// 00000000A20C: D3F30040 0D03D98C
	v_accvgpr_read_b32 v52, a199                               // 00000000A214: D3D84034 180001C7
	v_cvt_off_f32_i4_e32 v53, v52                              // 00000000A21C: 7E6A1D34
	v_cvt_off_f32_i4_sdwa v54, v52 dst_sel:DWORD dst_unused:UNUSED_PRESERVE src0_sel:BYTE_2// 00000000A220: 7E6C1CF9 00021634
	v_cvt_pk_fp8_f32 v56, v53, v54                             // 00000000A228: D2A20038 00026D35
	v_cvt_off_f32_i4_sdwa v53, v52 dst_sel:DWORD dst_unused:UNUSED_PRESERVE src0_sel:BYTE_1// 00000000A230: 7E6A1CF9 00011634
	v_cvt_off_f32_i4_sdwa v54, v52 dst_sel:DWORD dst_unused:UNUSED_PRESERVE src0_sel:BYTE_3// 00000000A238: 7E6C1CF9 00031634
	v_cvt_pk_fp8_f32 v57, v53, v54                             // 00000000A240: D2A20039 00026D35
	v_lshrrev_b32_e32 v55, 4, v52                              // 00000000A248: 206E6884
	v_cvt_off_f32_i4_e32 v53, v55                              // 00000000A24C: 7E6A1D37
	v_cvt_off_f32_i4_sdwa v54, v55 dst_sel:DWORD dst_unused:UNUSED_PRESERVE src0_sel:BYTE_2// 00000000A250: 7E6C1CF9 00021637
	v_cvt_pk_fp8_f32 v56, v53, v54 op_sel:[0,0,1]              // 00000000A258: D2A24038 00026D35
	v_cvt_off_f32_i4_sdwa v53, v55 dst_sel:DWORD dst_unused:UNUSED_PRESERVE src0_sel:BYTE_1// 00000000A260: 7E6A1CF9 00011637
	v_cvt_off_f32_i4_sdwa v54, v55 dst_sel:DWORD dst_unused:UNUSED_PRESERVE src0_sel:BYTE_3// 00000000A268: 7E6C1CF9 00031637
	v_cvt_pk_fp8_f32 v57, v53, v54 op_sel:[0,0,1]              // 00000000A270: D2A24039 00026D35
	v_accvgpr_write_b32 a142, v56                              // 00000000A278: D3D9408E 18000138
	v_accvgpr_write_b32 a143, v57                              // 00000000A280: D3D9408F 18000139
	s_nop 3                                                    // 00000000A288: BF800003
	v_mfma_f32_16x16x32_fp8_fp8 v[64:67], a[142:143], v[238:239], v[64:67]// 00000000A28C: D3F30040 0D03DD8E
	v_mfma_f32_16x16x32_fp8_fp8 v[68:71], a[128:129], v[240:241], v[68:71]// 00000000A294: D3F30044 0D13E180
	v_mfma_f32_16x16x32_fp8_fp8 v[68:71], a[130:131], v[242:243], v[68:71]// 00000000A29C: D3F30044 0D13E582
	buffer_load_dwordx4 a[68:71], v34, s[24:27], 0 offen offset:1024// 00000000A2A4: E05C1400 80864422
	v_mfma_f32_16x16x32_fp8_fp8 v[68:71], a[132:133], v[244:245], v[68:71]// 00000000A2AC: D3F30044 0D13E984
	v_mfma_f32_16x16x32_fp8_fp8 v[68:71], a[134:135], v[246:247], v[68:71]// 00000000A2B4: D3F30044 0D13ED86
	v_mfma_f32_16x16x32_fp8_fp8 v[68:71], a[136:137], v[248:249], v[68:71]// 00000000A2BC: D3F30044 0D13F188
	v_mfma_f32_16x16x32_fp8_fp8 v[68:71], a[138:139], v[250:251], v[68:71]// 00000000A2C4: D3F30044 0D13F58A
	v_mfma_f32_16x16x32_fp8_fp8 v[68:71], a[140:141], v[252:253], v[68:71]// 00000000A2CC: D3F30044 0D13F98C
	v_mfma_f32_16x16x32_fp8_fp8 v[68:71], a[142:143], v[254:255], v[68:71]// 00000000A2D4: D3F30044 0D13FD8E
	v_accvgpr_read_b32 v52, a200                               // 00000000A2DC: D3D84034 180001C8
	v_cvt_off_f32_i4_e32 v53, v52                              // 00000000A2E4: 7E6A1D34
	v_cvt_off_f32_i4_sdwa v54, v52 dst_sel:DWORD dst_unused:UNUSED_PRESERVE src0_sel:BYTE_2// 00000000A2E8: 7E6C1CF9 00021634
	v_cvt_pk_fp8_f32 v56, v53, v54                             // 00000000A2F0: D2A20038 00026D35
	v_cvt_off_f32_i4_sdwa v53, v52 dst_sel:DWORD dst_unused:UNUSED_PRESERVE src0_sel:BYTE_1// 00000000A2F8: 7E6A1CF9 00011634
	v_cvt_off_f32_i4_sdwa v54, v52 dst_sel:DWORD dst_unused:UNUSED_PRESERVE src0_sel:BYTE_3// 00000000A300: 7E6C1CF9 00031634
	v_cvt_pk_fp8_f32 v57, v53, v54                             // 00000000A308: D2A20039 00026D35
	v_lshrrev_b32_e32 v55, 4, v52                              // 00000000A310: 206E6884
	v_cvt_off_f32_i4_e32 v53, v55                              // 00000000A314: 7E6A1D37
	v_cvt_off_f32_i4_sdwa v54, v55 dst_sel:DWORD dst_unused:UNUSED_PRESERVE src0_sel:BYTE_2// 00000000A318: 7E6C1CF9 00021637
	v_cvt_pk_fp8_f32 v56, v53, v54 op_sel:[0,0,1]              // 00000000A320: D2A24038 00026D35
	v_cvt_off_f32_i4_sdwa v53, v55 dst_sel:DWORD dst_unused:UNUSED_PRESERVE src0_sel:BYTE_1// 00000000A328: 7E6A1CF9 00011637
	v_cvt_off_f32_i4_sdwa v54, v55 dst_sel:DWORD dst_unused:UNUSED_PRESERVE src0_sel:BYTE_3// 00000000A330: 7E6C1CF9 00031637
	v_cvt_pk_fp8_f32 v57, v53, v54 op_sel:[0,0,1]              // 00000000A338: D2A24039 00026D35
	v_accvgpr_write_b32 a144, v56                              // 00000000A340: D3D94090 18000138
	v_accvgpr_write_b32 a145, v57                              // 00000000A348: D3D94091 18000139
	s_nop 3                                                    // 00000000A350: BF800003
	v_mfma_f32_16x16x32_fp8_fp8 v[72:75], a[144:145], v[224:225], v[72:75]// 00000000A354: D3F30048 0D23C190
	v_accvgpr_read_b32 v52, a201                               // 00000000A35C: D3D84034 180001C9
	v_cvt_off_f32_i4_e32 v53, v52                              // 00000000A364: 7E6A1D34
	v_cvt_off_f32_i4_sdwa v54, v52 dst_sel:DWORD dst_unused:UNUSED_PRESERVE src0_sel:BYTE_2// 00000000A368: 7E6C1CF9 00021634
	v_cvt_pk_fp8_f32 v56, v53, v54                             // 00000000A370: D2A20038 00026D35
	v_cvt_off_f32_i4_sdwa v53, v52 dst_sel:DWORD dst_unused:UNUSED_PRESERVE src0_sel:BYTE_1// 00000000A378: 7E6A1CF9 00011634
	v_cvt_off_f32_i4_sdwa v54, v52 dst_sel:DWORD dst_unused:UNUSED_PRESERVE src0_sel:BYTE_3// 00000000A380: 7E6C1CF9 00031634
	v_cvt_pk_fp8_f32 v57, v53, v54                             // 00000000A388: D2A20039 00026D35
	v_lshrrev_b32_e32 v55, 4, v52                              // 00000000A390: 206E6884
	v_cvt_off_f32_i4_e32 v53, v55                              // 00000000A394: 7E6A1D37
	v_cvt_off_f32_i4_sdwa v54, v55 dst_sel:DWORD dst_unused:UNUSED_PRESERVE src0_sel:BYTE_2// 00000000A398: 7E6C1CF9 00021637
	v_cvt_pk_fp8_f32 v56, v53, v54 op_sel:[0,0,1]              // 00000000A3A0: D2A24038 00026D35
	v_cvt_off_f32_i4_sdwa v53, v55 dst_sel:DWORD dst_unused:UNUSED_PRESERVE src0_sel:BYTE_1// 00000000A3A8: 7E6A1CF9 00011637
	v_cvt_off_f32_i4_sdwa v54, v55 dst_sel:DWORD dst_unused:UNUSED_PRESERVE src0_sel:BYTE_3// 00000000A3B0: 7E6C1CF9 00031637
	v_cvt_pk_fp8_f32 v57, v53, v54 op_sel:[0,0,1]              // 00000000A3B8: D2A24039 00026D35
	v_accvgpr_write_b32 a146, v56                              // 00000000A3C0: D3D94092 18000138
	v_accvgpr_write_b32 a147, v57                              // 00000000A3C8: D3D94093 18000139
	s_nop 3                                                    // 00000000A3D0: BF800003
	v_mfma_f32_16x16x32_fp8_fp8 v[72:75], a[146:147], v[226:227], v[72:75]// 00000000A3D4: D3F30048 0D23C592
	buffer_load_dwordx4 a[72:75], v35, s[24:27], 0 offen       // 00000000A3DC: E05C1000 80864823
	v_accvgpr_read_b32 v52, a202                               // 00000000A3E4: D3D84034 180001CA
	v_cvt_off_f32_i4_e32 v53, v52                              // 00000000A3EC: 7E6A1D34
	v_cvt_off_f32_i4_sdwa v54, v52 dst_sel:DWORD dst_unused:UNUSED_PRESERVE src0_sel:BYTE_2// 00000000A3F0: 7E6C1CF9 00021634
	v_cvt_pk_fp8_f32 v56, v53, v54                             // 00000000A3F8: D2A20038 00026D35
	v_cvt_off_f32_i4_sdwa v53, v52 dst_sel:DWORD dst_unused:UNUSED_PRESERVE src0_sel:BYTE_1// 00000000A400: 7E6A1CF9 00011634
	v_cvt_off_f32_i4_sdwa v54, v52 dst_sel:DWORD dst_unused:UNUSED_PRESERVE src0_sel:BYTE_3// 00000000A408: 7E6C1CF9 00031634
	v_cvt_pk_fp8_f32 v57, v53, v54                             // 00000000A410: D2A20039 00026D35
	v_lshrrev_b32_e32 v55, 4, v52                              // 00000000A418: 206E6884
	v_cvt_off_f32_i4_e32 v53, v55                              // 00000000A41C: 7E6A1D37
	v_cvt_off_f32_i4_sdwa v54, v55 dst_sel:DWORD dst_unused:UNUSED_PRESERVE src0_sel:BYTE_2// 00000000A420: 7E6C1CF9 00021637
	v_cvt_pk_fp8_f32 v56, v53, v54 op_sel:[0,0,1]              // 00000000A428: D2A24038 00026D35
	v_cvt_off_f32_i4_sdwa v53, v55 dst_sel:DWORD dst_unused:UNUSED_PRESERVE src0_sel:BYTE_1// 00000000A430: 7E6A1CF9 00011637
	v_cvt_off_f32_i4_sdwa v54, v55 dst_sel:DWORD dst_unused:UNUSED_PRESERVE src0_sel:BYTE_3// 00000000A438: 7E6C1CF9 00031637
	v_cvt_pk_fp8_f32 v57, v53, v54 op_sel:[0,0,1]              // 00000000A440: D2A24039 00026D35
	v_accvgpr_write_b32 a148, v56                              // 00000000A448: D3D94094 18000138
	v_accvgpr_write_b32 a149, v57                              // 00000000A450: D3D94095 18000139
	s_nop 3                                                    // 00000000A458: BF800003
	v_mfma_f32_16x16x32_fp8_fp8 v[72:75], a[148:149], v[228:229], v[72:75]// 00000000A45C: D3F30048 0D23C994
	v_accvgpr_read_b32 v52, a203                               // 00000000A464: D3D84034 180001CB
	v_cvt_off_f32_i4_e32 v53, v52                              // 00000000A46C: 7E6A1D34
	v_cvt_off_f32_i4_sdwa v54, v52 dst_sel:DWORD dst_unused:UNUSED_PRESERVE src0_sel:BYTE_2// 00000000A470: 7E6C1CF9 00021634
	v_cvt_pk_fp8_f32 v56, v53, v54                             // 00000000A478: D2A20038 00026D35
	v_cvt_off_f32_i4_sdwa v53, v52 dst_sel:DWORD dst_unused:UNUSED_PRESERVE src0_sel:BYTE_1// 00000000A480: 7E6A1CF9 00011634
	v_cvt_off_f32_i4_sdwa v54, v52 dst_sel:DWORD dst_unused:UNUSED_PRESERVE src0_sel:BYTE_3// 00000000A488: 7E6C1CF9 00031634
	v_cvt_pk_fp8_f32 v57, v53, v54                             // 00000000A490: D2A20039 00026D35
	v_lshrrev_b32_e32 v55, 4, v52                              // 00000000A498: 206E6884
	v_cvt_off_f32_i4_e32 v53, v55                              // 00000000A49C: 7E6A1D37
	v_cvt_off_f32_i4_sdwa v54, v55 dst_sel:DWORD dst_unused:UNUSED_PRESERVE src0_sel:BYTE_2// 00000000A4A0: 7E6C1CF9 00021637
	v_cvt_pk_fp8_f32 v56, v53, v54 op_sel:[0,0,1]              // 00000000A4A8: D2A24038 00026D35
	v_cvt_off_f32_i4_sdwa v53, v55 dst_sel:DWORD dst_unused:UNUSED_PRESERVE src0_sel:BYTE_1// 00000000A4B0: 7E6A1CF9 00011637
	v_cvt_off_f32_i4_sdwa v54, v55 dst_sel:DWORD dst_unused:UNUSED_PRESERVE src0_sel:BYTE_3// 00000000A4B8: 7E6C1CF9 00031637
	v_cvt_pk_fp8_f32 v57, v53, v54 op_sel:[0,0,1]              // 00000000A4C0: D2A24039 00026D35
	v_accvgpr_write_b32 a150, v56                              // 00000000A4C8: D3D94096 18000138
	v_accvgpr_write_b32 a151, v57                              // 00000000A4D0: D3D94097 18000139
	s_nop 3                                                    // 00000000A4D8: BF800003
	v_mfma_f32_16x16x32_fp8_fp8 v[72:75], a[150:151], v[230:231], v[72:75]// 00000000A4DC: D3F30048 0D23CD96
	v_accvgpr_read_b32 v52, a204                               // 00000000A4E4: D3D84034 180001CC
	v_cvt_off_f32_i4_e32 v53, v52                              // 00000000A4EC: 7E6A1D34
	v_cvt_off_f32_i4_sdwa v54, v52 dst_sel:DWORD dst_unused:UNUSED_PRESERVE src0_sel:BYTE_2// 00000000A4F0: 7E6C1CF9 00021634
	v_cvt_pk_fp8_f32 v56, v53, v54                             // 00000000A4F8: D2A20038 00026D35
	v_cvt_off_f32_i4_sdwa v53, v52 dst_sel:DWORD dst_unused:UNUSED_PRESERVE src0_sel:BYTE_1// 00000000A500: 7E6A1CF9 00011634
	v_cvt_off_f32_i4_sdwa v54, v52 dst_sel:DWORD dst_unused:UNUSED_PRESERVE src0_sel:BYTE_3// 00000000A508: 7E6C1CF9 00031634
	v_cvt_pk_fp8_f32 v57, v53, v54                             // 00000000A510: D2A20039 00026D35
	v_lshrrev_b32_e32 v55, 4, v52                              // 00000000A518: 206E6884
	v_cvt_off_f32_i4_e32 v53, v55                              // 00000000A51C: 7E6A1D37
	v_cvt_off_f32_i4_sdwa v54, v55 dst_sel:DWORD dst_unused:UNUSED_PRESERVE src0_sel:BYTE_2// 00000000A520: 7E6C1CF9 00021637
	v_cvt_pk_fp8_f32 v56, v53, v54 op_sel:[0,0,1]              // 00000000A528: D2A24038 00026D35
	v_cvt_off_f32_i4_sdwa v53, v55 dst_sel:DWORD dst_unused:UNUSED_PRESERVE src0_sel:BYTE_1// 00000000A530: 7E6A1CF9 00011637
	v_cvt_off_f32_i4_sdwa v54, v55 dst_sel:DWORD dst_unused:UNUSED_PRESERVE src0_sel:BYTE_3// 00000000A538: 7E6C1CF9 00031637
	v_cvt_pk_fp8_f32 v57, v53, v54 op_sel:[0,0,1]              // 00000000A540: D2A24039 00026D35
	v_accvgpr_write_b32 a152, v56                              // 00000000A548: D3D94098 18000138
	v_accvgpr_write_b32 a153, v57                              // 00000000A550: D3D94099 18000139
	s_nop 3                                                    // 00000000A558: BF800003
	v_mfma_f32_16x16x32_fp8_fp8 v[72:75], a[152:153], v[232:233], v[72:75]// 00000000A55C: D3F30048 0D23D198
	v_accvgpr_read_b32 v52, a205                               // 00000000A564: D3D84034 180001CD
	v_cvt_off_f32_i4_e32 v53, v52                              // 00000000A56C: 7E6A1D34
	v_cvt_off_f32_i4_sdwa v54, v52 dst_sel:DWORD dst_unused:UNUSED_PRESERVE src0_sel:BYTE_2// 00000000A570: 7E6C1CF9 00021634
	v_cvt_pk_fp8_f32 v56, v53, v54                             // 00000000A578: D2A20038 00026D35
	v_cvt_off_f32_i4_sdwa v53, v52 dst_sel:DWORD dst_unused:UNUSED_PRESERVE src0_sel:BYTE_1// 00000000A580: 7E6A1CF9 00011634
	v_cvt_off_f32_i4_sdwa v54, v52 dst_sel:DWORD dst_unused:UNUSED_PRESERVE src0_sel:BYTE_3// 00000000A588: 7E6C1CF9 00031634
	v_cvt_pk_fp8_f32 v57, v53, v54                             // 00000000A590: D2A20039 00026D35
	v_lshrrev_b32_e32 v55, 4, v52                              // 00000000A598: 206E6884
	v_cvt_off_f32_i4_e32 v53, v55                              // 00000000A59C: 7E6A1D37
	v_cvt_off_f32_i4_sdwa v54, v55 dst_sel:DWORD dst_unused:UNUSED_PRESERVE src0_sel:BYTE_2// 00000000A5A0: 7E6C1CF9 00021637
	v_cvt_pk_fp8_f32 v56, v53, v54 op_sel:[0,0,1]              // 00000000A5A8: D2A24038 00026D35
	v_cvt_off_f32_i4_sdwa v53, v55 dst_sel:DWORD dst_unused:UNUSED_PRESERVE src0_sel:BYTE_1// 00000000A5B0: 7E6A1CF9 00011637
	v_cvt_off_f32_i4_sdwa v54, v55 dst_sel:DWORD dst_unused:UNUSED_PRESERVE src0_sel:BYTE_3// 00000000A5B8: 7E6C1CF9 00031637
	v_cvt_pk_fp8_f32 v57, v53, v54 op_sel:[0,0,1]              // 00000000A5C0: D2A24039 00026D35
	v_accvgpr_write_b32 a154, v56                              // 00000000A5C8: D3D9409A 18000138
	v_accvgpr_write_b32 a155, v57                              // 00000000A5D0: D3D9409B 18000139
	s_nop 3                                                    // 00000000A5D8: BF800003
	v_mfma_f32_16x16x32_fp8_fp8 v[72:75], a[154:155], v[234:235], v[72:75]// 00000000A5DC: D3F30048 0D23D59A
	v_accvgpr_read_b32 v52, a206                               // 00000000A5E4: D3D84034 180001CE
	v_cvt_off_f32_i4_e32 v53, v52                              // 00000000A5EC: 7E6A1D34
	v_cvt_off_f32_i4_sdwa v54, v52 dst_sel:DWORD dst_unused:UNUSED_PRESERVE src0_sel:BYTE_2// 00000000A5F0: 7E6C1CF9 00021634
	v_cvt_pk_fp8_f32 v56, v53, v54                             // 00000000A5F8: D2A20038 00026D35
	v_cvt_off_f32_i4_sdwa v53, v52 dst_sel:DWORD dst_unused:UNUSED_PRESERVE src0_sel:BYTE_1// 00000000A600: 7E6A1CF9 00011634
	v_cvt_off_f32_i4_sdwa v54, v52 dst_sel:DWORD dst_unused:UNUSED_PRESERVE src0_sel:BYTE_3// 00000000A608: 7E6C1CF9 00031634
	v_cvt_pk_fp8_f32 v57, v53, v54                             // 00000000A610: D2A20039 00026D35
	v_lshrrev_b32_e32 v55, 4, v52                              // 00000000A618: 206E6884
	v_cvt_off_f32_i4_e32 v53, v55                              // 00000000A61C: 7E6A1D37
	v_cvt_off_f32_i4_sdwa v54, v55 dst_sel:DWORD dst_unused:UNUSED_PRESERVE src0_sel:BYTE_2// 00000000A620: 7E6C1CF9 00021637
	v_cvt_pk_fp8_f32 v56, v53, v54 op_sel:[0,0,1]              // 00000000A628: D2A24038 00026D35
	v_cvt_off_f32_i4_sdwa v53, v55 dst_sel:DWORD dst_unused:UNUSED_PRESERVE src0_sel:BYTE_1// 00000000A630: 7E6A1CF9 00011637
	v_cvt_off_f32_i4_sdwa v54, v55 dst_sel:DWORD dst_unused:UNUSED_PRESERVE src0_sel:BYTE_3// 00000000A638: 7E6C1CF9 00031637
	v_cvt_pk_fp8_f32 v57, v53, v54 op_sel:[0,0,1]              // 00000000A640: D2A24039 00026D35
	v_accvgpr_write_b32 a156, v56                              // 00000000A648: D3D9409C 18000138
	v_accvgpr_write_b32 a157, v57                              // 00000000A650: D3D9409D 18000139
	s_nop 3                                                    // 00000000A658: BF800003
	v_mfma_f32_16x16x32_fp8_fp8 v[72:75], a[156:157], v[236:237], v[72:75]// 00000000A65C: D3F30048 0D23D99C
	v_accvgpr_read_b32 v52, a207                               // 00000000A664: D3D84034 180001CF
	v_cvt_off_f32_i4_e32 v53, v52                              // 00000000A66C: 7E6A1D34
	v_cvt_off_f32_i4_sdwa v54, v52 dst_sel:DWORD dst_unused:UNUSED_PRESERVE src0_sel:BYTE_2// 00000000A670: 7E6C1CF9 00021634
	v_cvt_pk_fp8_f32 v56, v53, v54                             // 00000000A678: D2A20038 00026D35
	v_cvt_off_f32_i4_sdwa v53, v52 dst_sel:DWORD dst_unused:UNUSED_PRESERVE src0_sel:BYTE_1// 00000000A680: 7E6A1CF9 00011634
	v_cvt_off_f32_i4_sdwa v54, v52 dst_sel:DWORD dst_unused:UNUSED_PRESERVE src0_sel:BYTE_3// 00000000A688: 7E6C1CF9 00031634
	v_cvt_pk_fp8_f32 v57, v53, v54                             // 00000000A690: D2A20039 00026D35
	v_lshrrev_b32_e32 v55, 4, v52                              // 00000000A698: 206E6884
	v_cvt_off_f32_i4_e32 v53, v55                              // 00000000A69C: 7E6A1D37
	v_cvt_off_f32_i4_sdwa v54, v55 dst_sel:DWORD dst_unused:UNUSED_PRESERVE src0_sel:BYTE_2// 00000000A6A0: 7E6C1CF9 00021637
	v_cvt_pk_fp8_f32 v56, v53, v54 op_sel:[0,0,1]              // 00000000A6A8: D2A24038 00026D35
	v_cvt_off_f32_i4_sdwa v53, v55 dst_sel:DWORD dst_unused:UNUSED_PRESERVE src0_sel:BYTE_1// 00000000A6B0: 7E6A1CF9 00011637
	v_cvt_off_f32_i4_sdwa v54, v55 dst_sel:DWORD dst_unused:UNUSED_PRESERVE src0_sel:BYTE_3// 00000000A6B8: 7E6C1CF9 00031637
	v_cvt_pk_fp8_f32 v57, v53, v54 op_sel:[0,0,1]              // 00000000A6C0: D2A24039 00026D35
	v_accvgpr_write_b32 a158, v56                              // 00000000A6C8: D3D9409E 18000138
	v_accvgpr_write_b32 a159, v57                              // 00000000A6D0: D3D9409F 18000139
	s_nop 3                                                    // 00000000A6D8: BF800003
	v_mfma_f32_16x16x32_fp8_fp8 v[72:75], a[158:159], v[238:239], v[72:75]// 00000000A6DC: D3F30048 0D23DD9E
	v_mfma_f32_16x16x32_fp8_fp8 v[76:79], a[144:145], v[240:241], v[76:79]// 00000000A6E4: D3F3004C 0D33E190
	v_mfma_f32_16x16x32_fp8_fp8 v[76:79], a[146:147], v[242:243], v[76:79]// 00000000A6EC: D3F3004C 0D33E592
	buffer_load_dwordx4 a[76:79], v35, s[24:27], 0 offen offset:1024// 00000000A6F4: E05C1400 80864C23
	v_mfma_f32_16x16x32_fp8_fp8 v[76:79], a[148:149], v[244:245], v[76:79]// 00000000A6FC: D3F3004C 0D33E994
	v_mfma_f32_16x16x32_fp8_fp8 v[76:79], a[150:151], v[246:247], v[76:79]// 00000000A704: D3F3004C 0D33ED96
	v_mfma_f32_16x16x32_fp8_fp8 v[76:79], a[152:153], v[248:249], v[76:79]// 00000000A70C: D3F3004C 0D33F198
	v_mfma_f32_16x16x32_fp8_fp8 v[76:79], a[154:155], v[250:251], v[76:79]// 00000000A714: D3F3004C 0D33F59A
	v_mfma_f32_16x16x32_fp8_fp8 v[76:79], a[156:157], v[252:253], v[76:79]// 00000000A71C: D3F3004C 0D33F99C
	v_mfma_f32_16x16x32_fp8_fp8 v[76:79], a[158:159], v[254:255], v[76:79]// 00000000A724: D3F3004C 0D33FD9E
	s_waitcnt vmcnt(14)                                        // 00000000A72C: BF8C0F7E
	v_accvgpr_read_b32 v52, a208                               // 00000000A730: D3D84034 180001D0
	v_cvt_off_f32_i4_e32 v53, v52                              // 00000000A738: 7E6A1D34
	v_cvt_off_f32_i4_sdwa v54, v52 dst_sel:DWORD dst_unused:UNUSED_PRESERVE src0_sel:BYTE_2// 00000000A73C: 7E6C1CF9 00021634
	v_cvt_pk_fp8_f32 v56, v53, v54                             // 00000000A744: D2A20038 00026D35
	v_cvt_off_f32_i4_sdwa v53, v52 dst_sel:DWORD dst_unused:UNUSED_PRESERVE src0_sel:BYTE_1// 00000000A74C: 7E6A1CF9 00011634
	v_cvt_off_f32_i4_sdwa v54, v52 dst_sel:DWORD dst_unused:UNUSED_PRESERVE src0_sel:BYTE_3// 00000000A754: 7E6C1CF9 00031634
	v_cvt_pk_fp8_f32 v57, v53, v54                             // 00000000A75C: D2A20039 00026D35
	v_lshrrev_b32_e32 v55, 4, v52                              // 00000000A764: 206E6884
	v_cvt_off_f32_i4_e32 v53, v55                              // 00000000A768: 7E6A1D37
	v_cvt_off_f32_i4_sdwa v54, v55 dst_sel:DWORD dst_unused:UNUSED_PRESERVE src0_sel:BYTE_2// 00000000A76C: 7E6C1CF9 00021637
	v_cvt_pk_fp8_f32 v56, v53, v54 op_sel:[0,0,1]              // 00000000A774: D2A24038 00026D35
	v_cvt_off_f32_i4_sdwa v53, v55 dst_sel:DWORD dst_unused:UNUSED_PRESERVE src0_sel:BYTE_1// 00000000A77C: 7E6A1CF9 00011637
	v_cvt_off_f32_i4_sdwa v54, v55 dst_sel:DWORD dst_unused:UNUSED_PRESERVE src0_sel:BYTE_3// 00000000A784: 7E6C1CF9 00031637
	v_cvt_pk_fp8_f32 v57, v53, v54 op_sel:[0,0,1]              // 00000000A78C: D2A24039 00026D35
	v_accvgpr_write_b32 a160, v56                              // 00000000A794: D3D940A0 18000138
	v_accvgpr_write_b32 a161, v57                              // 00000000A79C: D3D940A1 18000139
	s_nop 3                                                    // 00000000A7A4: BF800003
	v_mfma_f32_16x16x32_fp8_fp8 v[80:83], a[160:161], v[224:225], v[80:83]// 00000000A7A8: D3F30050 0D43C1A0
	v_accvgpr_read_b32 v52, a209                               // 00000000A7B0: D3D84034 180001D1
	v_cvt_off_f32_i4_e32 v53, v52                              // 00000000A7B8: 7E6A1D34
	v_cvt_off_f32_i4_sdwa v54, v52 dst_sel:DWORD dst_unused:UNUSED_PRESERVE src0_sel:BYTE_2// 00000000A7BC: 7E6C1CF9 00021634
	v_cvt_pk_fp8_f32 v56, v53, v54                             // 00000000A7C4: D2A20038 00026D35
	v_cvt_off_f32_i4_sdwa v53, v52 dst_sel:DWORD dst_unused:UNUSED_PRESERVE src0_sel:BYTE_1// 00000000A7CC: 7E6A1CF9 00011634
	v_cvt_off_f32_i4_sdwa v54, v52 dst_sel:DWORD dst_unused:UNUSED_PRESERVE src0_sel:BYTE_3// 00000000A7D4: 7E6C1CF9 00031634
	v_cvt_pk_fp8_f32 v57, v53, v54                             // 00000000A7DC: D2A20039 00026D35
	v_lshrrev_b32_e32 v55, 4, v52                              // 00000000A7E4: 206E6884
	v_cvt_off_f32_i4_e32 v53, v55                              // 00000000A7E8: 7E6A1D37
	v_cvt_off_f32_i4_sdwa v54, v55 dst_sel:DWORD dst_unused:UNUSED_PRESERVE src0_sel:BYTE_2// 00000000A7EC: 7E6C1CF9 00021637
	v_cvt_pk_fp8_f32 v56, v53, v54 op_sel:[0,0,1]              // 00000000A7F4: D2A24038 00026D35
	v_cvt_off_f32_i4_sdwa v53, v55 dst_sel:DWORD dst_unused:UNUSED_PRESERVE src0_sel:BYTE_1// 00000000A7FC: 7E6A1CF9 00011637
	v_cvt_off_f32_i4_sdwa v54, v55 dst_sel:DWORD dst_unused:UNUSED_PRESERVE src0_sel:BYTE_3// 00000000A804: 7E6C1CF9 00031637
	v_cvt_pk_fp8_f32 v57, v53, v54 op_sel:[0,0,1]              // 00000000A80C: D2A24039 00026D35
	v_accvgpr_write_b32 a162, v56                              // 00000000A814: D3D940A2 18000138
	v_accvgpr_write_b32 a163, v57                              // 00000000A81C: D3D940A3 18000139
	s_nop 3                                                    // 00000000A824: BF800003
	v_mfma_f32_16x16x32_fp8_fp8 v[80:83], a[162:163], v[226:227], v[80:83]// 00000000A828: D3F30050 0D43C5A2
	buffer_load_dwordx4 a[80:83], v36, s[24:27], 0 offen       // 00000000A830: E05C1000 80865024
	v_accvgpr_read_b32 v52, a210                               // 00000000A838: D3D84034 180001D2
	v_cvt_off_f32_i4_e32 v53, v52                              // 00000000A840: 7E6A1D34
	v_cvt_off_f32_i4_sdwa v54, v52 dst_sel:DWORD dst_unused:UNUSED_PRESERVE src0_sel:BYTE_2// 00000000A844: 7E6C1CF9 00021634
	v_cvt_pk_fp8_f32 v56, v53, v54                             // 00000000A84C: D2A20038 00026D35
	v_cvt_off_f32_i4_sdwa v53, v52 dst_sel:DWORD dst_unused:UNUSED_PRESERVE src0_sel:BYTE_1// 00000000A854: 7E6A1CF9 00011634
	v_cvt_off_f32_i4_sdwa v54, v52 dst_sel:DWORD dst_unused:UNUSED_PRESERVE src0_sel:BYTE_3// 00000000A85C: 7E6C1CF9 00031634
	v_cvt_pk_fp8_f32 v57, v53, v54                             // 00000000A864: D2A20039 00026D35
	v_lshrrev_b32_e32 v55, 4, v52                              // 00000000A86C: 206E6884
	v_cvt_off_f32_i4_e32 v53, v55                              // 00000000A870: 7E6A1D37
	v_cvt_off_f32_i4_sdwa v54, v55 dst_sel:DWORD dst_unused:UNUSED_PRESERVE src0_sel:BYTE_2// 00000000A874: 7E6C1CF9 00021637
	v_cvt_pk_fp8_f32 v56, v53, v54 op_sel:[0,0,1]              // 00000000A87C: D2A24038 00026D35
	v_cvt_off_f32_i4_sdwa v53, v55 dst_sel:DWORD dst_unused:UNUSED_PRESERVE src0_sel:BYTE_1// 00000000A884: 7E6A1CF9 00011637
	v_cvt_off_f32_i4_sdwa v54, v55 dst_sel:DWORD dst_unused:UNUSED_PRESERVE src0_sel:BYTE_3// 00000000A88C: 7E6C1CF9 00031637
	v_cvt_pk_fp8_f32 v57, v53, v54 op_sel:[0,0,1]              // 00000000A894: D2A24039 00026D35
	v_accvgpr_write_b32 a164, v56                              // 00000000A89C: D3D940A4 18000138
	v_accvgpr_write_b32 a165, v57                              // 00000000A8A4: D3D940A5 18000139
	s_nop 3                                                    // 00000000A8AC: BF800003
	v_mfma_f32_16x16x32_fp8_fp8 v[80:83], a[164:165], v[228:229], v[80:83]// 00000000A8B0: D3F30050 0D43C9A4
	v_accvgpr_read_b32 v52, a211                               // 00000000A8B8: D3D84034 180001D3
	v_cvt_off_f32_i4_e32 v53, v52                              // 00000000A8C0: 7E6A1D34
	v_cvt_off_f32_i4_sdwa v54, v52 dst_sel:DWORD dst_unused:UNUSED_PRESERVE src0_sel:BYTE_2// 00000000A8C4: 7E6C1CF9 00021634
	v_cvt_pk_fp8_f32 v56, v53, v54                             // 00000000A8CC: D2A20038 00026D35
	v_cvt_off_f32_i4_sdwa v53, v52 dst_sel:DWORD dst_unused:UNUSED_PRESERVE src0_sel:BYTE_1// 00000000A8D4: 7E6A1CF9 00011634
	v_cvt_off_f32_i4_sdwa v54, v52 dst_sel:DWORD dst_unused:UNUSED_PRESERVE src0_sel:BYTE_3// 00000000A8DC: 7E6C1CF9 00031634
	v_cvt_pk_fp8_f32 v57, v53, v54                             // 00000000A8E4: D2A20039 00026D35
	v_lshrrev_b32_e32 v55, 4, v52                              // 00000000A8EC: 206E6884
	v_cvt_off_f32_i4_e32 v53, v55                              // 00000000A8F0: 7E6A1D37
	v_cvt_off_f32_i4_sdwa v54, v55 dst_sel:DWORD dst_unused:UNUSED_PRESERVE src0_sel:BYTE_2// 00000000A8F4: 7E6C1CF9 00021637
	v_cvt_pk_fp8_f32 v56, v53, v54 op_sel:[0,0,1]              // 00000000A8FC: D2A24038 00026D35
	v_cvt_off_f32_i4_sdwa v53, v55 dst_sel:DWORD dst_unused:UNUSED_PRESERVE src0_sel:BYTE_1// 00000000A904: 7E6A1CF9 00011637
	v_cvt_off_f32_i4_sdwa v54, v55 dst_sel:DWORD dst_unused:UNUSED_PRESERVE src0_sel:BYTE_3// 00000000A90C: 7E6C1CF9 00031637
	v_cvt_pk_fp8_f32 v57, v53, v54 op_sel:[0,0,1]              // 00000000A914: D2A24039 00026D35
	v_accvgpr_write_b32 a166, v56                              // 00000000A91C: D3D940A6 18000138
	v_accvgpr_write_b32 a167, v57                              // 00000000A924: D3D940A7 18000139
	s_nop 3                                                    // 00000000A92C: BF800003
	v_mfma_f32_16x16x32_fp8_fp8 v[80:83], a[166:167], v[230:231], v[80:83]// 00000000A930: D3F30050 0D43CDA6
	ds_read_b128 v[192:195], v2                                // 00000000A938: D9FE0000 C0000002
	v_accvgpr_read_b32 v52, a212                               // 00000000A940: D3D84034 180001D4
	v_cvt_off_f32_i4_e32 v53, v52                              // 00000000A948: 7E6A1D34
	v_cvt_off_f32_i4_sdwa v54, v52 dst_sel:DWORD dst_unused:UNUSED_PRESERVE src0_sel:BYTE_2// 00000000A94C: 7E6C1CF9 00021634
	v_cvt_pk_fp8_f32 v56, v53, v54                             // 00000000A954: D2A20038 00026D35
	v_cvt_off_f32_i4_sdwa v53, v52 dst_sel:DWORD dst_unused:UNUSED_PRESERVE src0_sel:BYTE_1// 00000000A95C: 7E6A1CF9 00011634
	v_cvt_off_f32_i4_sdwa v54, v52 dst_sel:DWORD dst_unused:UNUSED_PRESERVE src0_sel:BYTE_3// 00000000A964: 7E6C1CF9 00031634
	v_cvt_pk_fp8_f32 v57, v53, v54                             // 00000000A96C: D2A20039 00026D35
	v_lshrrev_b32_e32 v55, 4, v52                              // 00000000A974: 206E6884
	v_cvt_off_f32_i4_e32 v53, v55                              // 00000000A978: 7E6A1D37
	v_cvt_off_f32_i4_sdwa v54, v55 dst_sel:DWORD dst_unused:UNUSED_PRESERVE src0_sel:BYTE_2// 00000000A97C: 7E6C1CF9 00021637
	v_cvt_pk_fp8_f32 v56, v53, v54 op_sel:[0,0,1]              // 00000000A984: D2A24038 00026D35
	v_cvt_off_f32_i4_sdwa v53, v55 dst_sel:DWORD dst_unused:UNUSED_PRESERVE src0_sel:BYTE_1// 00000000A98C: 7E6A1CF9 00011637
	v_cvt_off_f32_i4_sdwa v54, v55 dst_sel:DWORD dst_unused:UNUSED_PRESERVE src0_sel:BYTE_3// 00000000A994: 7E6C1CF9 00031637
	v_cvt_pk_fp8_f32 v57, v53, v54 op_sel:[0,0,1]              // 00000000A99C: D2A24039 00026D35
	v_accvgpr_write_b32 a168, v56                              // 00000000A9A4: D3D940A8 18000138
	v_accvgpr_write_b32 a169, v57                              // 00000000A9AC: D3D940A9 18000139
	s_nop 3                                                    // 00000000A9B4: BF800003
	v_mfma_f32_16x16x32_fp8_fp8 v[80:83], a[168:169], v[232:233], v[80:83]// 00000000A9B8: D3F30050 0D43D1A8
	v_accvgpr_read_b32 v52, a213                               // 00000000A9C0: D3D84034 180001D5
	v_cvt_off_f32_i4_e32 v53, v52                              // 00000000A9C8: 7E6A1D34
	v_cvt_off_f32_i4_sdwa v54, v52 dst_sel:DWORD dst_unused:UNUSED_PRESERVE src0_sel:BYTE_2// 00000000A9CC: 7E6C1CF9 00021634
	v_cvt_pk_fp8_f32 v56, v53, v54                             // 00000000A9D4: D2A20038 00026D35
	v_cvt_off_f32_i4_sdwa v53, v52 dst_sel:DWORD dst_unused:UNUSED_PRESERVE src0_sel:BYTE_1// 00000000A9DC: 7E6A1CF9 00011634
	v_cvt_off_f32_i4_sdwa v54, v52 dst_sel:DWORD dst_unused:UNUSED_PRESERVE src0_sel:BYTE_3// 00000000A9E4: 7E6C1CF9 00031634
	v_cvt_pk_fp8_f32 v57, v53, v54                             // 00000000A9EC: D2A20039 00026D35
	v_lshrrev_b32_e32 v55, 4, v52                              // 00000000A9F4: 206E6884
	v_cvt_off_f32_i4_e32 v53, v55                              // 00000000A9F8: 7E6A1D37
	v_cvt_off_f32_i4_sdwa v54, v55 dst_sel:DWORD dst_unused:UNUSED_PRESERVE src0_sel:BYTE_2// 00000000A9FC: 7E6C1CF9 00021637
	v_cvt_pk_fp8_f32 v56, v53, v54 op_sel:[0,0,1]              // 00000000AA04: D2A24038 00026D35
	v_cvt_off_f32_i4_sdwa v53, v55 dst_sel:DWORD dst_unused:UNUSED_PRESERVE src0_sel:BYTE_1// 00000000AA0C: 7E6A1CF9 00011637
	v_cvt_off_f32_i4_sdwa v54, v55 dst_sel:DWORD dst_unused:UNUSED_PRESERVE src0_sel:BYTE_3// 00000000AA14: 7E6C1CF9 00031637
	v_cvt_pk_fp8_f32 v57, v53, v54 op_sel:[0,0,1]              // 00000000AA1C: D2A24039 00026D35
	v_accvgpr_write_b32 a170, v56                              // 00000000AA24: D3D940AA 18000138
	v_accvgpr_write_b32 a171, v57                              // 00000000AA2C: D3D940AB 18000139
	s_nop 3                                                    // 00000000AA34: BF800003
	v_mfma_f32_16x16x32_fp8_fp8 v[80:83], a[170:171], v[234:235], v[80:83]// 00000000AA38: D3F30050 0D43D5AA
	v_accvgpr_read_b32 v52, a214                               // 00000000AA40: D3D84034 180001D6
	v_cvt_off_f32_i4_e32 v53, v52                              // 00000000AA48: 7E6A1D34
	v_cvt_off_f32_i4_sdwa v54, v52 dst_sel:DWORD dst_unused:UNUSED_PRESERVE src0_sel:BYTE_2// 00000000AA4C: 7E6C1CF9 00021634
	v_cvt_pk_fp8_f32 v56, v53, v54                             // 00000000AA54: D2A20038 00026D35
	v_cvt_off_f32_i4_sdwa v53, v52 dst_sel:DWORD dst_unused:UNUSED_PRESERVE src0_sel:BYTE_1// 00000000AA5C: 7E6A1CF9 00011634
	v_cvt_off_f32_i4_sdwa v54, v52 dst_sel:DWORD dst_unused:UNUSED_PRESERVE src0_sel:BYTE_3// 00000000AA64: 7E6C1CF9 00031634
	v_cvt_pk_fp8_f32 v57, v53, v54                             // 00000000AA6C: D2A20039 00026D35
	v_lshrrev_b32_e32 v55, 4, v52                              // 00000000AA74: 206E6884
	v_cvt_off_f32_i4_e32 v53, v55                              // 00000000AA78: 7E6A1D37
	v_cvt_off_f32_i4_sdwa v54, v55 dst_sel:DWORD dst_unused:UNUSED_PRESERVE src0_sel:BYTE_2// 00000000AA7C: 7E6C1CF9 00021637
	v_cvt_pk_fp8_f32 v56, v53, v54 op_sel:[0,0,1]              // 00000000AA84: D2A24038 00026D35
	v_cvt_off_f32_i4_sdwa v53, v55 dst_sel:DWORD dst_unused:UNUSED_PRESERVE src0_sel:BYTE_1// 00000000AA8C: 7E6A1CF9 00011637
	v_cvt_off_f32_i4_sdwa v54, v55 dst_sel:DWORD dst_unused:UNUSED_PRESERVE src0_sel:BYTE_3// 00000000AA94: 7E6C1CF9 00031637
	v_cvt_pk_fp8_f32 v57, v53, v54 op_sel:[0,0,1]              // 00000000AA9C: D2A24039 00026D35
	v_accvgpr_write_b32 a172, v56                              // 00000000AAA4: D3D940AC 18000138
	v_accvgpr_write_b32 a173, v57                              // 00000000AAAC: D3D940AD 18000139
	s_nop 3                                                    // 00000000AAB4: BF800003
	v_mfma_f32_16x16x32_fp8_fp8 v[80:83], a[172:173], v[236:237], v[80:83]// 00000000AAB8: D3F30050 0D43D9AC
	v_accvgpr_read_b32 v52, a215                               // 00000000AAC0: D3D84034 180001D7
	v_cvt_off_f32_i4_e32 v53, v52                              // 00000000AAC8: 7E6A1D34
	v_cvt_off_f32_i4_sdwa v54, v52 dst_sel:DWORD dst_unused:UNUSED_PRESERVE src0_sel:BYTE_2// 00000000AACC: 7E6C1CF9 00021634
	v_cvt_pk_fp8_f32 v56, v53, v54                             // 00000000AAD4: D2A20038 00026D35
	v_cvt_off_f32_i4_sdwa v53, v52 dst_sel:DWORD dst_unused:UNUSED_PRESERVE src0_sel:BYTE_1// 00000000AADC: 7E6A1CF9 00011634
	v_cvt_off_f32_i4_sdwa v54, v52 dst_sel:DWORD dst_unused:UNUSED_PRESERVE src0_sel:BYTE_3// 00000000AAE4: 7E6C1CF9 00031634
	v_cvt_pk_fp8_f32 v57, v53, v54                             // 00000000AAEC: D2A20039 00026D35
	v_lshrrev_b32_e32 v55, 4, v52                              // 00000000AAF4: 206E6884
	v_cvt_off_f32_i4_e32 v53, v55                              // 00000000AAF8: 7E6A1D37
	v_cvt_off_f32_i4_sdwa v54, v55 dst_sel:DWORD dst_unused:UNUSED_PRESERVE src0_sel:BYTE_2// 00000000AAFC: 7E6C1CF9 00021637
	v_cvt_pk_fp8_f32 v56, v53, v54 op_sel:[0,0,1]              // 00000000AB04: D2A24038 00026D35
	v_cvt_off_f32_i4_sdwa v53, v55 dst_sel:DWORD dst_unused:UNUSED_PRESERVE src0_sel:BYTE_1// 00000000AB0C: 7E6A1CF9 00011637
	v_cvt_off_f32_i4_sdwa v54, v55 dst_sel:DWORD dst_unused:UNUSED_PRESERVE src0_sel:BYTE_3// 00000000AB14: 7E6C1CF9 00031637
	v_cvt_pk_fp8_f32 v57, v53, v54 op_sel:[0,0,1]              // 00000000AB1C: D2A24039 00026D35
	v_accvgpr_write_b32 a174, v56                              // 00000000AB24: D3D940AE 18000138
	v_accvgpr_write_b32 a175, v57                              // 00000000AB2C: D3D940AF 18000139
	s_nop 3                                                    // 00000000AB34: BF800003
	v_mfma_f32_16x16x32_fp8_fp8 v[80:83], a[174:175], v[238:239], v[80:83]// 00000000AB38: D3F30050 0D43DDAE
	ds_read_b128 v[196:199], v2 offset:16                      // 00000000AB40: D9FE0010 C4000002
	v_mfma_f32_16x16x32_fp8_fp8 v[84:87], a[160:161], v[240:241], v[84:87]// 00000000AB48: D3F30054 0D53E1A0
	v_mfma_f32_16x16x32_fp8_fp8 v[84:87], a[162:163], v[242:243], v[84:87]// 00000000AB50: D3F30054 0D53E5A2
	buffer_load_dwordx4 a[84:87], v36, s[24:27], 0 offen offset:1024// 00000000AB58: E05C1400 80865424
	v_mfma_f32_16x16x32_fp8_fp8 v[84:87], a[164:165], v[244:245], v[84:87]// 00000000AB60: D3F30054 0D53E9A4
	v_mfma_f32_16x16x32_fp8_fp8 v[84:87], a[166:167], v[246:247], v[84:87]// 00000000AB68: D3F30054 0D53EDA6
	ds_read_b128 v[200:203], v2 offset:128                     // 00000000AB70: D9FE0080 C8000002
	v_mfma_f32_16x16x32_fp8_fp8 v[84:87], a[168:169], v[248:249], v[84:87]// 00000000AB78: D3F30054 0D53F1A8
	v_mfma_f32_16x16x32_fp8_fp8 v[84:87], a[170:171], v[250:251], v[84:87]// 00000000AB80: D3F30054 0D53F5AA
	v_mfma_f32_16x16x32_fp8_fp8 v[84:87], a[172:173], v[252:253], v[84:87]// 00000000AB88: D3F30054 0D53F9AC
	v_mfma_f32_16x16x32_fp8_fp8 v[84:87], a[174:175], v[254:255], v[84:87]// 00000000AB90: D3F30054 0D53FDAE
	ds_read_b128 v[204:207], v2 offset:144                     // 00000000AB98: D9FE0090 CC000002
	s_waitcnt vmcnt(14)                                        // 00000000ABA0: BF8C0F7E
	v_accvgpr_read_b32 v52, a216                               // 00000000ABA4: D3D84034 180001D8
	v_cvt_off_f32_i4_e32 v53, v52                              // 00000000ABAC: 7E6A1D34
	v_cvt_off_f32_i4_sdwa v54, v52 dst_sel:DWORD dst_unused:UNUSED_PRESERVE src0_sel:BYTE_2// 00000000ABB0: 7E6C1CF9 00021634
	v_cvt_pk_fp8_f32 v56, v53, v54                             // 00000000ABB8: D2A20038 00026D35
	v_cvt_off_f32_i4_sdwa v53, v52 dst_sel:DWORD dst_unused:UNUSED_PRESERVE src0_sel:BYTE_1// 00000000ABC0: 7E6A1CF9 00011634
	v_cvt_off_f32_i4_sdwa v54, v52 dst_sel:DWORD dst_unused:UNUSED_PRESERVE src0_sel:BYTE_3// 00000000ABC8: 7E6C1CF9 00031634
	v_cvt_pk_fp8_f32 v57, v53, v54                             // 00000000ABD0: D2A20039 00026D35
	v_lshrrev_b32_e32 v55, 4, v52                              // 00000000ABD8: 206E6884
	v_cvt_off_f32_i4_e32 v53, v55                              // 00000000ABDC: 7E6A1D37
	v_cvt_off_f32_i4_sdwa v54, v55 dst_sel:DWORD dst_unused:UNUSED_PRESERVE src0_sel:BYTE_2// 00000000ABE0: 7E6C1CF9 00021637
	v_cvt_pk_fp8_f32 v56, v53, v54 op_sel:[0,0,1]              // 00000000ABE8: D2A24038 00026D35
	v_cvt_off_f32_i4_sdwa v53, v55 dst_sel:DWORD dst_unused:UNUSED_PRESERVE src0_sel:BYTE_1// 00000000ABF0: 7E6A1CF9 00011637
	v_cvt_off_f32_i4_sdwa v54, v55 dst_sel:DWORD dst_unused:UNUSED_PRESERVE src0_sel:BYTE_3// 00000000ABF8: 7E6C1CF9 00031637
	v_cvt_pk_fp8_f32 v57, v53, v54 op_sel:[0,0,1]              // 00000000AC00: D2A24039 00026D35
	v_accvgpr_write_b32 a176, v56                              // 00000000AC08: D3D940B0 18000138
	v_accvgpr_write_b32 a177, v57                              // 00000000AC10: D3D940B1 18000139
	s_nop 3                                                    // 00000000AC18: BF800003
	v_mfma_f32_16x16x32_fp8_fp8 v[88:91], a[176:177], v[224:225], v[88:91]// 00000000AC1C: D3F30058 0D63C1B0
	v_accvgpr_read_b32 v52, a217                               // 00000000AC24: D3D84034 180001D9
	v_cvt_off_f32_i4_e32 v53, v52                              // 00000000AC2C: 7E6A1D34
	v_cvt_off_f32_i4_sdwa v54, v52 dst_sel:DWORD dst_unused:UNUSED_PRESERVE src0_sel:BYTE_2// 00000000AC30: 7E6C1CF9 00021634
	v_cvt_pk_fp8_f32 v56, v53, v54                             // 00000000AC38: D2A20038 00026D35
	v_cvt_off_f32_i4_sdwa v53, v52 dst_sel:DWORD dst_unused:UNUSED_PRESERVE src0_sel:BYTE_1// 00000000AC40: 7E6A1CF9 00011634
	v_cvt_off_f32_i4_sdwa v54, v52 dst_sel:DWORD dst_unused:UNUSED_PRESERVE src0_sel:BYTE_3// 00000000AC48: 7E6C1CF9 00031634
	v_cvt_pk_fp8_f32 v57, v53, v54                             // 00000000AC50: D2A20039 00026D35
	v_lshrrev_b32_e32 v55, 4, v52                              // 00000000AC58: 206E6884
	v_cvt_off_f32_i4_e32 v53, v55                              // 00000000AC5C: 7E6A1D37
	v_cvt_off_f32_i4_sdwa v54, v55 dst_sel:DWORD dst_unused:UNUSED_PRESERVE src0_sel:BYTE_2// 00000000AC60: 7E6C1CF9 00021637
	v_cvt_pk_fp8_f32 v56, v53, v54 op_sel:[0,0,1]              // 00000000AC68: D2A24038 00026D35
	v_cvt_off_f32_i4_sdwa v53, v55 dst_sel:DWORD dst_unused:UNUSED_PRESERVE src0_sel:BYTE_1// 00000000AC70: 7E6A1CF9 00011637
	v_cvt_off_f32_i4_sdwa v54, v55 dst_sel:DWORD dst_unused:UNUSED_PRESERVE src0_sel:BYTE_3// 00000000AC78: 7E6C1CF9 00031637
	v_cvt_pk_fp8_f32 v57, v53, v54 op_sel:[0,0,1]              // 00000000AC80: D2A24039 00026D35
	v_accvgpr_write_b32 a178, v56                              // 00000000AC88: D3D940B2 18000138
	v_accvgpr_write_b32 a179, v57                              // 00000000AC90: D3D940B3 18000139
	s_nop 3                                                    // 00000000AC98: BF800003
	v_mfma_f32_16x16x32_fp8_fp8 v[88:91], a[178:179], v[226:227], v[88:91]// 00000000AC9C: D3F30058 0D63C5B2
	buffer_load_dwordx4 a[88:91], v37, s[24:27], 0 offen       // 00000000ACA4: E05C1000 80865825
	v_accvgpr_read_b32 v52, a218                               // 00000000ACAC: D3D84034 180001DA
	v_cvt_off_f32_i4_e32 v53, v52                              // 00000000ACB4: 7E6A1D34
	v_cvt_off_f32_i4_sdwa v54, v52 dst_sel:DWORD dst_unused:UNUSED_PRESERVE src0_sel:BYTE_2// 00000000ACB8: 7E6C1CF9 00021634
	v_cvt_pk_fp8_f32 v56, v53, v54                             // 00000000ACC0: D2A20038 00026D35
	v_cvt_off_f32_i4_sdwa v53, v52 dst_sel:DWORD dst_unused:UNUSED_PRESERVE src0_sel:BYTE_1// 00000000ACC8: 7E6A1CF9 00011634
	v_cvt_off_f32_i4_sdwa v54, v52 dst_sel:DWORD dst_unused:UNUSED_PRESERVE src0_sel:BYTE_3// 00000000ACD0: 7E6C1CF9 00031634
	v_cvt_pk_fp8_f32 v57, v53, v54                             // 00000000ACD8: D2A20039 00026D35
	v_lshrrev_b32_e32 v55, 4, v52                              // 00000000ACE0: 206E6884
	v_cvt_off_f32_i4_e32 v53, v55                              // 00000000ACE4: 7E6A1D37
	v_cvt_off_f32_i4_sdwa v54, v55 dst_sel:DWORD dst_unused:UNUSED_PRESERVE src0_sel:BYTE_2// 00000000ACE8: 7E6C1CF9 00021637
	v_cvt_pk_fp8_f32 v56, v53, v54 op_sel:[0,0,1]              // 00000000ACF0: D2A24038 00026D35
	v_cvt_off_f32_i4_sdwa v53, v55 dst_sel:DWORD dst_unused:UNUSED_PRESERVE src0_sel:BYTE_1// 00000000ACF8: 7E6A1CF9 00011637
	v_cvt_off_f32_i4_sdwa v54, v55 dst_sel:DWORD dst_unused:UNUSED_PRESERVE src0_sel:BYTE_3// 00000000AD00: 7E6C1CF9 00031637
	v_cvt_pk_fp8_f32 v57, v53, v54 op_sel:[0,0,1]              // 00000000AD08: D2A24039 00026D35
	v_accvgpr_write_b32 a180, v56                              // 00000000AD10: D3D940B4 18000138
	v_accvgpr_write_b32 a181, v57                              // 00000000AD18: D3D940B5 18000139
	s_nop 3                                                    // 00000000AD20: BF800003
	v_mfma_f32_16x16x32_fp8_fp8 v[88:91], a[180:181], v[228:229], v[88:91]// 00000000AD24: D3F30058 0D63C9B4
	v_accvgpr_read_b32 v52, a219                               // 00000000AD2C: D3D84034 180001DB
	v_cvt_off_f32_i4_e32 v53, v52                              // 00000000AD34: 7E6A1D34
	v_cvt_off_f32_i4_sdwa v54, v52 dst_sel:DWORD dst_unused:UNUSED_PRESERVE src0_sel:BYTE_2// 00000000AD38: 7E6C1CF9 00021634
	v_cvt_pk_fp8_f32 v56, v53, v54                             // 00000000AD40: D2A20038 00026D35
	v_cvt_off_f32_i4_sdwa v53, v52 dst_sel:DWORD dst_unused:UNUSED_PRESERVE src0_sel:BYTE_1// 00000000AD48: 7E6A1CF9 00011634
	v_cvt_off_f32_i4_sdwa v54, v52 dst_sel:DWORD dst_unused:UNUSED_PRESERVE src0_sel:BYTE_3// 00000000AD50: 7E6C1CF9 00031634
	v_cvt_pk_fp8_f32 v57, v53, v54                             // 00000000AD58: D2A20039 00026D35
	v_lshrrev_b32_e32 v55, 4, v52                              // 00000000AD60: 206E6884
	v_cvt_off_f32_i4_e32 v53, v55                              // 00000000AD64: 7E6A1D37
	v_cvt_off_f32_i4_sdwa v54, v55 dst_sel:DWORD dst_unused:UNUSED_PRESERVE src0_sel:BYTE_2// 00000000AD68: 7E6C1CF9 00021637
	v_cvt_pk_fp8_f32 v56, v53, v54 op_sel:[0,0,1]              // 00000000AD70: D2A24038 00026D35
	v_cvt_off_f32_i4_sdwa v53, v55 dst_sel:DWORD dst_unused:UNUSED_PRESERVE src0_sel:BYTE_1// 00000000AD78: 7E6A1CF9 00011637
	v_cvt_off_f32_i4_sdwa v54, v55 dst_sel:DWORD dst_unused:UNUSED_PRESERVE src0_sel:BYTE_3// 00000000AD80: 7E6C1CF9 00031637
	v_cvt_pk_fp8_f32 v57, v53, v54 op_sel:[0,0,1]              // 00000000AD88: D2A24039 00026D35
	v_accvgpr_write_b32 a182, v56                              // 00000000AD90: D3D940B6 18000138
	v_accvgpr_write_b32 a183, v57                              // 00000000AD98: D3D940B7 18000139
	s_nop 3                                                    // 00000000ADA0: BF800003
	v_mfma_f32_16x16x32_fp8_fp8 v[88:91], a[182:183], v[230:231], v[88:91]// 00000000ADA4: D3F30058 0D63CDB6
	ds_read_b128 v[208:211], v2 offset:1024                    // 00000000ADAC: D9FE0400 D0000002
	v_accvgpr_read_b32 v52, a220                               // 00000000ADB4: D3D84034 180001DC
	v_cvt_off_f32_i4_e32 v53, v52                              // 00000000ADBC: 7E6A1D34
	v_cvt_off_f32_i4_sdwa v54, v52 dst_sel:DWORD dst_unused:UNUSED_PRESERVE src0_sel:BYTE_2// 00000000ADC0: 7E6C1CF9 00021634
	v_cvt_pk_fp8_f32 v56, v53, v54                             // 00000000ADC8: D2A20038 00026D35
	v_cvt_off_f32_i4_sdwa v53, v52 dst_sel:DWORD dst_unused:UNUSED_PRESERVE src0_sel:BYTE_1// 00000000ADD0: 7E6A1CF9 00011634
	v_cvt_off_f32_i4_sdwa v54, v52 dst_sel:DWORD dst_unused:UNUSED_PRESERVE src0_sel:BYTE_3// 00000000ADD8: 7E6C1CF9 00031634
	v_cvt_pk_fp8_f32 v57, v53, v54                             // 00000000ADE0: D2A20039 00026D35
	v_lshrrev_b32_e32 v55, 4, v52                              // 00000000ADE8: 206E6884
	v_cvt_off_f32_i4_e32 v53, v55                              // 00000000ADEC: 7E6A1D37
	v_cvt_off_f32_i4_sdwa v54, v55 dst_sel:DWORD dst_unused:UNUSED_PRESERVE src0_sel:BYTE_2// 00000000ADF0: 7E6C1CF9 00021637
	v_cvt_pk_fp8_f32 v56, v53, v54 op_sel:[0,0,1]              // 00000000ADF8: D2A24038 00026D35
	v_cvt_off_f32_i4_sdwa v53, v55 dst_sel:DWORD dst_unused:UNUSED_PRESERVE src0_sel:BYTE_1// 00000000AE00: 7E6A1CF9 00011637
	v_cvt_off_f32_i4_sdwa v54, v55 dst_sel:DWORD dst_unused:UNUSED_PRESERVE src0_sel:BYTE_3// 00000000AE08: 7E6C1CF9 00031637
	v_cvt_pk_fp8_f32 v57, v53, v54 op_sel:[0,0,1]              // 00000000AE10: D2A24039 00026D35
	v_accvgpr_write_b32 a184, v56                              // 00000000AE18: D3D940B8 18000138
	v_accvgpr_write_b32 a185, v57                              // 00000000AE20: D3D940B9 18000139
	s_nop 3                                                    // 00000000AE28: BF800003
	v_mfma_f32_16x16x32_fp8_fp8 v[88:91], a[184:185], v[232:233], v[88:91]// 00000000AE2C: D3F30058 0D63D1B8
	v_accvgpr_read_b32 v52, a221                               // 00000000AE34: D3D84034 180001DD
	v_cvt_off_f32_i4_e32 v53, v52                              // 00000000AE3C: 7E6A1D34
	v_cvt_off_f32_i4_sdwa v54, v52 dst_sel:DWORD dst_unused:UNUSED_PRESERVE src0_sel:BYTE_2// 00000000AE40: 7E6C1CF9 00021634
	v_cvt_pk_fp8_f32 v56, v53, v54                             // 00000000AE48: D2A20038 00026D35
	v_cvt_off_f32_i4_sdwa v53, v52 dst_sel:DWORD dst_unused:UNUSED_PRESERVE src0_sel:BYTE_1// 00000000AE50: 7E6A1CF9 00011634
	v_cvt_off_f32_i4_sdwa v54, v52 dst_sel:DWORD dst_unused:UNUSED_PRESERVE src0_sel:BYTE_3// 00000000AE58: 7E6C1CF9 00031634
	v_cvt_pk_fp8_f32 v57, v53, v54                             // 00000000AE60: D2A20039 00026D35
	v_lshrrev_b32_e32 v55, 4, v52                              // 00000000AE68: 206E6884
	v_cvt_off_f32_i4_e32 v53, v55                              // 00000000AE6C: 7E6A1D37
	v_cvt_off_f32_i4_sdwa v54, v55 dst_sel:DWORD dst_unused:UNUSED_PRESERVE src0_sel:BYTE_2// 00000000AE70: 7E6C1CF9 00021637
	v_cvt_pk_fp8_f32 v56, v53, v54 op_sel:[0,0,1]              // 00000000AE78: D2A24038 00026D35
	v_cvt_off_f32_i4_sdwa v53, v55 dst_sel:DWORD dst_unused:UNUSED_PRESERVE src0_sel:BYTE_1// 00000000AE80: 7E6A1CF9 00011637
	v_cvt_off_f32_i4_sdwa v54, v55 dst_sel:DWORD dst_unused:UNUSED_PRESERVE src0_sel:BYTE_3// 00000000AE88: 7E6C1CF9 00031637
	v_cvt_pk_fp8_f32 v57, v53, v54 op_sel:[0,0,1]              // 00000000AE90: D2A24039 00026D35
	v_accvgpr_write_b32 a186, v56                              // 00000000AE98: D3D940BA 18000138
	v_accvgpr_write_b32 a187, v57                              // 00000000AEA0: D3D940BB 18000139
	s_nop 3                                                    // 00000000AEA8: BF800003
	v_mfma_f32_16x16x32_fp8_fp8 v[88:91], a[186:187], v[234:235], v[88:91]// 00000000AEAC: D3F30058 0D63D5BA
	v_accvgpr_read_b32 v52, a222                               // 00000000AEB4: D3D84034 180001DE
	v_cvt_off_f32_i4_e32 v53, v52                              // 00000000AEBC: 7E6A1D34
	v_cvt_off_f32_i4_sdwa v54, v52 dst_sel:DWORD dst_unused:UNUSED_PRESERVE src0_sel:BYTE_2// 00000000AEC0: 7E6C1CF9 00021634
	v_cvt_pk_fp8_f32 v56, v53, v54                             // 00000000AEC8: D2A20038 00026D35
	v_cvt_off_f32_i4_sdwa v53, v52 dst_sel:DWORD dst_unused:UNUSED_PRESERVE src0_sel:BYTE_1// 00000000AED0: 7E6A1CF9 00011634
	v_cvt_off_f32_i4_sdwa v54, v52 dst_sel:DWORD dst_unused:UNUSED_PRESERVE src0_sel:BYTE_3// 00000000AED8: 7E6C1CF9 00031634
	v_cvt_pk_fp8_f32 v57, v53, v54                             // 00000000AEE0: D2A20039 00026D35
	v_lshrrev_b32_e32 v55, 4, v52                              // 00000000AEE8: 206E6884
	v_cvt_off_f32_i4_e32 v53, v55                              // 00000000AEEC: 7E6A1D37
	v_cvt_off_f32_i4_sdwa v54, v55 dst_sel:DWORD dst_unused:UNUSED_PRESERVE src0_sel:BYTE_2// 00000000AEF0: 7E6C1CF9 00021637
	v_cvt_pk_fp8_f32 v56, v53, v54 op_sel:[0,0,1]              // 00000000AEF8: D2A24038 00026D35
	v_cvt_off_f32_i4_sdwa v53, v55 dst_sel:DWORD dst_unused:UNUSED_PRESERVE src0_sel:BYTE_1// 00000000AF00: 7E6A1CF9 00011637
	v_cvt_off_f32_i4_sdwa v54, v55 dst_sel:DWORD dst_unused:UNUSED_PRESERVE src0_sel:BYTE_3// 00000000AF08: 7E6C1CF9 00031637
	v_cvt_pk_fp8_f32 v57, v53, v54 op_sel:[0,0,1]              // 00000000AF10: D2A24039 00026D35
	v_accvgpr_write_b32 a188, v56                              // 00000000AF18: D3D940BC 18000138
	v_accvgpr_write_b32 a189, v57                              // 00000000AF20: D3D940BD 18000139
	s_nop 3                                                    // 00000000AF28: BF800003
	v_mfma_f32_16x16x32_fp8_fp8 v[88:91], a[188:189], v[236:237], v[88:91]// 00000000AF2C: D3F30058 0D63D9BC
	v_accvgpr_read_b32 v52, a223                               // 00000000AF34: D3D84034 180001DF
	v_cvt_off_f32_i4_e32 v53, v52                              // 00000000AF3C: 7E6A1D34
	v_cvt_off_f32_i4_sdwa v54, v52 dst_sel:DWORD dst_unused:UNUSED_PRESERVE src0_sel:BYTE_2// 00000000AF40: 7E6C1CF9 00021634
	v_cvt_pk_fp8_f32 v56, v53, v54                             // 00000000AF48: D2A20038 00026D35
	v_cvt_off_f32_i4_sdwa v53, v52 dst_sel:DWORD dst_unused:UNUSED_PRESERVE src0_sel:BYTE_1// 00000000AF50: 7E6A1CF9 00011634
	v_cvt_off_f32_i4_sdwa v54, v52 dst_sel:DWORD dst_unused:UNUSED_PRESERVE src0_sel:BYTE_3// 00000000AF58: 7E6C1CF9 00031634
	v_cvt_pk_fp8_f32 v57, v53, v54                             // 00000000AF60: D2A20039 00026D35
	v_lshrrev_b32_e32 v55, 4, v52                              // 00000000AF68: 206E6884
	v_cvt_off_f32_i4_e32 v53, v55                              // 00000000AF6C: 7E6A1D37
	v_cvt_off_f32_i4_sdwa v54, v55 dst_sel:DWORD dst_unused:UNUSED_PRESERVE src0_sel:BYTE_2// 00000000AF70: 7E6C1CF9 00021637
	v_cvt_pk_fp8_f32 v56, v53, v54 op_sel:[0,0,1]              // 00000000AF78: D2A24038 00026D35
	v_cvt_off_f32_i4_sdwa v53, v55 dst_sel:DWORD dst_unused:UNUSED_PRESERVE src0_sel:BYTE_1// 00000000AF80: 7E6A1CF9 00011637
	v_cvt_off_f32_i4_sdwa v54, v55 dst_sel:DWORD dst_unused:UNUSED_PRESERVE src0_sel:BYTE_3// 00000000AF88: 7E6C1CF9 00031637
	v_cvt_pk_fp8_f32 v57, v53, v54 op_sel:[0,0,1]              // 00000000AF90: D2A24039 00026D35
	v_accvgpr_write_b32 a190, v56                              // 00000000AF98: D3D940BE 18000138
	v_accvgpr_write_b32 a191, v57                              // 00000000AFA0: D3D940BF 18000139
	s_nop 3                                                    // 00000000AFA8: BF800003
	v_mfma_f32_16x16x32_fp8_fp8 v[88:91], a[190:191], v[238:239], v[88:91]// 00000000AFAC: D3F30058 0D63DDBE
	ds_read_b128 v[212:215], v2 offset:1040                    // 00000000AFB4: D9FE0410 D4000002
	v_mfma_f32_16x16x32_fp8_fp8 v[92:95], a[176:177], v[240:241], v[92:95]// 00000000AFBC: D3F3005C 0D73E1B0
	v_mfma_f32_16x16x32_fp8_fp8 v[92:95], a[178:179], v[242:243], v[92:95]// 00000000AFC4: D3F3005C 0D73E5B2
	buffer_load_dwordx4 a[92:95], v37, s[24:27], 0 offen offset:1024// 00000000AFCC: E05C1400 80865C25
	v_mfma_f32_16x16x32_fp8_fp8 v[92:95], a[180:181], v[244:245], v[92:95]// 00000000AFD4: D3F3005C 0D73E9B4
	v_mfma_f32_16x16x32_fp8_fp8 v[92:95], a[182:183], v[246:247], v[92:95]// 00000000AFDC: D3F3005C 0D73EDB6
	ds_read_b128 v[216:219], v2 offset:1152                    // 00000000AFE4: D9FE0480 D8000002
	v_mfma_f32_16x16x32_fp8_fp8 v[92:95], a[184:185], v[248:249], v[92:95]// 00000000AFEC: D3F3005C 0D73F1B8
	v_mfma_f32_16x16x32_fp8_fp8 v[92:95], a[186:187], v[250:251], v[92:95]// 00000000AFF4: D3F3005C 0D73F5BA
	v_mfma_f32_16x16x32_fp8_fp8 v[92:95], a[188:189], v[252:253], v[92:95]// 00000000AFFC: D3F3005C 0D73F9BC
	v_mfma_f32_16x16x32_fp8_fp8 v[92:95], a[190:191], v[254:255], v[92:95]// 00000000B004: D3F3005C 0D73FDBE
	ds_read_b128 v[220:223], v2 offset:1168                    // 00000000B00C: D9FE0490 DC000002
	s_waitcnt vmcnt(14)                                        // 00000000B014: BF8C0F7E
	v_accvgpr_read_b32 v52, a224                               // 00000000B018: D3D84034 180001E0
	v_cvt_off_f32_i4_e32 v53, v52                              // 00000000B020: 7E6A1D34
	v_cvt_off_f32_i4_sdwa v54, v52 dst_sel:DWORD dst_unused:UNUSED_PRESERVE src0_sel:BYTE_2// 00000000B024: 7E6C1CF9 00021634
	v_cvt_pk_fp8_f32 v56, v53, v54                             // 00000000B02C: D2A20038 00026D35
	v_cvt_off_f32_i4_sdwa v53, v52 dst_sel:DWORD dst_unused:UNUSED_PRESERVE src0_sel:BYTE_1// 00000000B034: 7E6A1CF9 00011634
	v_cvt_off_f32_i4_sdwa v54, v52 dst_sel:DWORD dst_unused:UNUSED_PRESERVE src0_sel:BYTE_3// 00000000B03C: 7E6C1CF9 00031634
	v_cvt_pk_fp8_f32 v57, v53, v54                             // 00000000B044: D2A20039 00026D35
	v_lshrrev_b32_e32 v55, 4, v52                              // 00000000B04C: 206E6884
	v_cvt_off_f32_i4_e32 v53, v55                              // 00000000B050: 7E6A1D37
	v_cvt_off_f32_i4_sdwa v54, v55 dst_sel:DWORD dst_unused:UNUSED_PRESERVE src0_sel:BYTE_2// 00000000B054: 7E6C1CF9 00021637
	v_cvt_pk_fp8_f32 v56, v53, v54 op_sel:[0,0,1]              // 00000000B05C: D2A24038 00026D35
	v_cvt_off_f32_i4_sdwa v53, v55 dst_sel:DWORD dst_unused:UNUSED_PRESERVE src0_sel:BYTE_1// 00000000B064: 7E6A1CF9 00011637
	v_cvt_off_f32_i4_sdwa v54, v55 dst_sel:DWORD dst_unused:UNUSED_PRESERVE src0_sel:BYTE_3// 00000000B06C: 7E6C1CF9 00031637
	v_cvt_pk_fp8_f32 v57, v53, v54 op_sel:[0,0,1]              // 00000000B074: D2A24039 00026D35
	v_accvgpr_write_b32 a192, v56                              // 00000000B07C: D3D940C0 18000138
	v_accvgpr_write_b32 a193, v57                              // 00000000B084: D3D940C1 18000139
	s_nop 3                                                    // 00000000B08C: BF800003
	v_mfma_f32_16x16x32_fp8_fp8 v[96:99], a[192:193], v[224:225], v[96:99]// 00000000B090: D3F30060 0D83C1C0
	v_accvgpr_read_b32 v52, a225                               // 00000000B098: D3D84034 180001E1
	v_cvt_off_f32_i4_e32 v53, v52                              // 00000000B0A0: 7E6A1D34
	v_cvt_off_f32_i4_sdwa v54, v52 dst_sel:DWORD dst_unused:UNUSED_PRESERVE src0_sel:BYTE_2// 00000000B0A4: 7E6C1CF9 00021634
	v_cvt_pk_fp8_f32 v56, v53, v54                             // 00000000B0AC: D2A20038 00026D35
	v_cvt_off_f32_i4_sdwa v53, v52 dst_sel:DWORD dst_unused:UNUSED_PRESERVE src0_sel:BYTE_1// 00000000B0B4: 7E6A1CF9 00011634
	v_cvt_off_f32_i4_sdwa v54, v52 dst_sel:DWORD dst_unused:UNUSED_PRESERVE src0_sel:BYTE_3// 00000000B0BC: 7E6C1CF9 00031634
	v_cvt_pk_fp8_f32 v57, v53, v54                             // 00000000B0C4: D2A20039 00026D35
	v_lshrrev_b32_e32 v55, 4, v52                              // 00000000B0CC: 206E6884
	v_cvt_off_f32_i4_e32 v53, v55                              // 00000000B0D0: 7E6A1D37
	v_cvt_off_f32_i4_sdwa v54, v55 dst_sel:DWORD dst_unused:UNUSED_PRESERVE src0_sel:BYTE_2// 00000000B0D4: 7E6C1CF9 00021637
	v_cvt_pk_fp8_f32 v56, v53, v54 op_sel:[0,0,1]              // 00000000B0DC: D2A24038 00026D35
	v_cvt_off_f32_i4_sdwa v53, v55 dst_sel:DWORD dst_unused:UNUSED_PRESERVE src0_sel:BYTE_1// 00000000B0E4: 7E6A1CF9 00011637
	v_cvt_off_f32_i4_sdwa v54, v55 dst_sel:DWORD dst_unused:UNUSED_PRESERVE src0_sel:BYTE_3// 00000000B0EC: 7E6C1CF9 00031637
	v_cvt_pk_fp8_f32 v57, v53, v54 op_sel:[0,0,1]              // 00000000B0F4: D2A24039 00026D35
	v_accvgpr_write_b32 a194, v56                              // 00000000B0FC: D3D940C2 18000138
	v_accvgpr_write_b32 a195, v57                              // 00000000B104: D3D940C3 18000139
	s_nop 3                                                    // 00000000B10C: BF800003
	v_mfma_f32_16x16x32_fp8_fp8 v[96:99], a[194:195], v[226:227], v[96:99]// 00000000B110: D3F30060 0D83C5C2
	buffer_load_dwordx4 a[96:99], v38, s[24:27], 0 offen       // 00000000B118: E05C1000 80866026
	v_accvgpr_read_b32 v52, a226                               // 00000000B120: D3D84034 180001E2
	v_cvt_off_f32_i4_e32 v53, v52                              // 00000000B128: 7E6A1D34
	v_cvt_off_f32_i4_sdwa v54, v52 dst_sel:DWORD dst_unused:UNUSED_PRESERVE src0_sel:BYTE_2// 00000000B12C: 7E6C1CF9 00021634
	v_cvt_pk_fp8_f32 v56, v53, v54                             // 00000000B134: D2A20038 00026D35
	v_cvt_off_f32_i4_sdwa v53, v52 dst_sel:DWORD dst_unused:UNUSED_PRESERVE src0_sel:BYTE_1// 00000000B13C: 7E6A1CF9 00011634
	v_cvt_off_f32_i4_sdwa v54, v52 dst_sel:DWORD dst_unused:UNUSED_PRESERVE src0_sel:BYTE_3// 00000000B144: 7E6C1CF9 00031634
	v_cvt_pk_fp8_f32 v57, v53, v54                             // 00000000B14C: D2A20039 00026D35
	v_lshrrev_b32_e32 v55, 4, v52                              // 00000000B154: 206E6884
	v_cvt_off_f32_i4_e32 v53, v55                              // 00000000B158: 7E6A1D37
	v_cvt_off_f32_i4_sdwa v54, v55 dst_sel:DWORD dst_unused:UNUSED_PRESERVE src0_sel:BYTE_2// 00000000B15C: 7E6C1CF9 00021637
	v_cvt_pk_fp8_f32 v56, v53, v54 op_sel:[0,0,1]              // 00000000B164: D2A24038 00026D35
	v_cvt_off_f32_i4_sdwa v53, v55 dst_sel:DWORD dst_unused:UNUSED_PRESERVE src0_sel:BYTE_1// 00000000B16C: 7E6A1CF9 00011637
	v_cvt_off_f32_i4_sdwa v54, v55 dst_sel:DWORD dst_unused:UNUSED_PRESERVE src0_sel:BYTE_3// 00000000B174: 7E6C1CF9 00031637
	v_cvt_pk_fp8_f32 v57, v53, v54 op_sel:[0,0,1]              // 00000000B17C: D2A24039 00026D35
	v_accvgpr_write_b32 a196, v56                              // 00000000B184: D3D940C4 18000138
	v_accvgpr_write_b32 a197, v57                              // 00000000B18C: D3D940C5 18000139
	s_nop 3                                                    // 00000000B194: BF800003
	v_mfma_f32_16x16x32_fp8_fp8 v[96:99], a[196:197], v[228:229], v[96:99]// 00000000B198: D3F30060 0D83C9C4
	v_accvgpr_read_b32 v52, a227                               // 00000000B1A0: D3D84034 180001E3
	v_cvt_off_f32_i4_e32 v53, v52                              // 00000000B1A8: 7E6A1D34
	v_cvt_off_f32_i4_sdwa v54, v52 dst_sel:DWORD dst_unused:UNUSED_PRESERVE src0_sel:BYTE_2// 00000000B1AC: 7E6C1CF9 00021634
	v_cvt_pk_fp8_f32 v56, v53, v54                             // 00000000B1B4: D2A20038 00026D35
	v_cvt_off_f32_i4_sdwa v53, v52 dst_sel:DWORD dst_unused:UNUSED_PRESERVE src0_sel:BYTE_1// 00000000B1BC: 7E6A1CF9 00011634
	v_cvt_off_f32_i4_sdwa v54, v52 dst_sel:DWORD dst_unused:UNUSED_PRESERVE src0_sel:BYTE_3// 00000000B1C4: 7E6C1CF9 00031634
	v_cvt_pk_fp8_f32 v57, v53, v54                             // 00000000B1CC: D2A20039 00026D35
	v_lshrrev_b32_e32 v55, 4, v52                              // 00000000B1D4: 206E6884
	v_cvt_off_f32_i4_e32 v53, v55                              // 00000000B1D8: 7E6A1D37
	v_cvt_off_f32_i4_sdwa v54, v55 dst_sel:DWORD dst_unused:UNUSED_PRESERVE src0_sel:BYTE_2// 00000000B1DC: 7E6C1CF9 00021637
	v_cvt_pk_fp8_f32 v56, v53, v54 op_sel:[0,0,1]              // 00000000B1E4: D2A24038 00026D35
	v_cvt_off_f32_i4_sdwa v53, v55 dst_sel:DWORD dst_unused:UNUSED_PRESERVE src0_sel:BYTE_1// 00000000B1EC: 7E6A1CF9 00011637
	v_cvt_off_f32_i4_sdwa v54, v55 dst_sel:DWORD dst_unused:UNUSED_PRESERVE src0_sel:BYTE_3// 00000000B1F4: 7E6C1CF9 00031637
	v_cvt_pk_fp8_f32 v57, v53, v54 op_sel:[0,0,1]              // 00000000B1FC: D2A24039 00026D35
	v_accvgpr_write_b32 a198, v56                              // 00000000B204: D3D940C6 18000138
	v_accvgpr_write_b32 a199, v57                              // 00000000B20C: D3D940C7 18000139
	s_nop 3                                                    // 00000000B214: BF800003
	v_mfma_f32_16x16x32_fp8_fp8 v[96:99], a[198:199], v[230:231], v[96:99]// 00000000B218: D3F30060 0D83CDC6
	v_accvgpr_read_b32 v52, a228                               // 00000000B220: D3D84034 180001E4
	v_cvt_off_f32_i4_e32 v53, v52                              // 00000000B228: 7E6A1D34
	v_cvt_off_f32_i4_sdwa v54, v52 dst_sel:DWORD dst_unused:UNUSED_PRESERVE src0_sel:BYTE_2// 00000000B22C: 7E6C1CF9 00021634
	v_cvt_pk_fp8_f32 v56, v53, v54                             // 00000000B234: D2A20038 00026D35
	v_cvt_off_f32_i4_sdwa v53, v52 dst_sel:DWORD dst_unused:UNUSED_PRESERVE src0_sel:BYTE_1// 00000000B23C: 7E6A1CF9 00011634
	v_cvt_off_f32_i4_sdwa v54, v52 dst_sel:DWORD dst_unused:UNUSED_PRESERVE src0_sel:BYTE_3// 00000000B244: 7E6C1CF9 00031634
	v_cvt_pk_fp8_f32 v57, v53, v54                             // 00000000B24C: D2A20039 00026D35
	v_lshrrev_b32_e32 v55, 4, v52                              // 00000000B254: 206E6884
	v_cvt_off_f32_i4_e32 v53, v55                              // 00000000B258: 7E6A1D37
	v_cvt_off_f32_i4_sdwa v54, v55 dst_sel:DWORD dst_unused:UNUSED_PRESERVE src0_sel:BYTE_2// 00000000B25C: 7E6C1CF9 00021637
	v_cvt_pk_fp8_f32 v56, v53, v54 op_sel:[0,0,1]              // 00000000B264: D2A24038 00026D35
	v_cvt_off_f32_i4_sdwa v53, v55 dst_sel:DWORD dst_unused:UNUSED_PRESERVE src0_sel:BYTE_1// 00000000B26C: 7E6A1CF9 00011637
	v_cvt_off_f32_i4_sdwa v54, v55 dst_sel:DWORD dst_unused:UNUSED_PRESERVE src0_sel:BYTE_3// 00000000B274: 7E6C1CF9 00031637
	v_cvt_pk_fp8_f32 v57, v53, v54 op_sel:[0,0,1]              // 00000000B27C: D2A24039 00026D35
	v_accvgpr_write_b32 a200, v56                              // 00000000B284: D3D940C8 18000138
	v_accvgpr_write_b32 a201, v57                              // 00000000B28C: D3D940C9 18000139
	s_nop 3                                                    // 00000000B294: BF800003
	v_mfma_f32_16x16x32_fp8_fp8 v[96:99], a[200:201], v[232:233], v[96:99]// 00000000B298: D3F30060 0D83D1C8
	v_accvgpr_read_b32 v52, a229                               // 00000000B2A0: D3D84034 180001E5
	v_cvt_off_f32_i4_e32 v53, v52                              // 00000000B2A8: 7E6A1D34
	v_cvt_off_f32_i4_sdwa v54, v52 dst_sel:DWORD dst_unused:UNUSED_PRESERVE src0_sel:BYTE_2// 00000000B2AC: 7E6C1CF9 00021634
	v_cvt_pk_fp8_f32 v56, v53, v54                             // 00000000B2B4: D2A20038 00026D35
	v_cvt_off_f32_i4_sdwa v53, v52 dst_sel:DWORD dst_unused:UNUSED_PRESERVE src0_sel:BYTE_1// 00000000B2BC: 7E6A1CF9 00011634
	v_cvt_off_f32_i4_sdwa v54, v52 dst_sel:DWORD dst_unused:UNUSED_PRESERVE src0_sel:BYTE_3// 00000000B2C4: 7E6C1CF9 00031634
	v_cvt_pk_fp8_f32 v57, v53, v54                             // 00000000B2CC: D2A20039 00026D35
	v_lshrrev_b32_e32 v55, 4, v52                              // 00000000B2D4: 206E6884
	v_cvt_off_f32_i4_e32 v53, v55                              // 00000000B2D8: 7E6A1D37
	v_cvt_off_f32_i4_sdwa v54, v55 dst_sel:DWORD dst_unused:UNUSED_PRESERVE src0_sel:BYTE_2// 00000000B2DC: 7E6C1CF9 00021637
	v_cvt_pk_fp8_f32 v56, v53, v54 op_sel:[0,0,1]              // 00000000B2E4: D2A24038 00026D35
	v_cvt_off_f32_i4_sdwa v53, v55 dst_sel:DWORD dst_unused:UNUSED_PRESERVE src0_sel:BYTE_1// 00000000B2EC: 7E6A1CF9 00011637
	v_cvt_off_f32_i4_sdwa v54, v55 dst_sel:DWORD dst_unused:UNUSED_PRESERVE src0_sel:BYTE_3// 00000000B2F4: 7E6C1CF9 00031637
	v_cvt_pk_fp8_f32 v57, v53, v54 op_sel:[0,0,1]              // 00000000B2FC: D2A24039 00026D35
	v_accvgpr_write_b32 a202, v56                              // 00000000B304: D3D940CA 18000138
	v_accvgpr_write_b32 a203, v57                              // 00000000B30C: D3D940CB 18000139
	s_nop 3                                                    // 00000000B314: BF800003
	v_mfma_f32_16x16x32_fp8_fp8 v[96:99], a[202:203], v[234:235], v[96:99]// 00000000B318: D3F30060 0D83D5CA
	v_accvgpr_read_b32 v52, a230                               // 00000000B320: D3D84034 180001E6
	v_cvt_off_f32_i4_e32 v53, v52                              // 00000000B328: 7E6A1D34
	v_cvt_off_f32_i4_sdwa v54, v52 dst_sel:DWORD dst_unused:UNUSED_PRESERVE src0_sel:BYTE_2// 00000000B32C: 7E6C1CF9 00021634
	v_cvt_pk_fp8_f32 v56, v53, v54                             // 00000000B334: D2A20038 00026D35
	v_cvt_off_f32_i4_sdwa v53, v52 dst_sel:DWORD dst_unused:UNUSED_PRESERVE src0_sel:BYTE_1// 00000000B33C: 7E6A1CF9 00011634
	v_cvt_off_f32_i4_sdwa v54, v52 dst_sel:DWORD dst_unused:UNUSED_PRESERVE src0_sel:BYTE_3// 00000000B344: 7E6C1CF9 00031634
	v_cvt_pk_fp8_f32 v57, v53, v54                             // 00000000B34C: D2A20039 00026D35
	v_lshrrev_b32_e32 v55, 4, v52                              // 00000000B354: 206E6884
	v_cvt_off_f32_i4_e32 v53, v55                              // 00000000B358: 7E6A1D37
	v_cvt_off_f32_i4_sdwa v54, v55 dst_sel:DWORD dst_unused:UNUSED_PRESERVE src0_sel:BYTE_2// 00000000B35C: 7E6C1CF9 00021637
	v_cvt_pk_fp8_f32 v56, v53, v54 op_sel:[0,0,1]              // 00000000B364: D2A24038 00026D35
	v_cvt_off_f32_i4_sdwa v53, v55 dst_sel:DWORD dst_unused:UNUSED_PRESERVE src0_sel:BYTE_1// 00000000B36C: 7E6A1CF9 00011637
	v_cvt_off_f32_i4_sdwa v54, v55 dst_sel:DWORD dst_unused:UNUSED_PRESERVE src0_sel:BYTE_3// 00000000B374: 7E6C1CF9 00031637
	v_cvt_pk_fp8_f32 v57, v53, v54 op_sel:[0,0,1]              // 00000000B37C: D2A24039 00026D35
	v_accvgpr_write_b32 a204, v56                              // 00000000B384: D3D940CC 18000138
	v_accvgpr_write_b32 a205, v57                              // 00000000B38C: D3D940CD 18000139
	s_nop 3                                                    // 00000000B394: BF800003
	v_mfma_f32_16x16x32_fp8_fp8 v[96:99], a[204:205], v[236:237], v[96:99]// 00000000B398: D3F30060 0D83D9CC
	v_accvgpr_read_b32 v52, a231                               // 00000000B3A0: D3D84034 180001E7
	v_cvt_off_f32_i4_e32 v53, v52                              // 00000000B3A8: 7E6A1D34
	v_cvt_off_f32_i4_sdwa v54, v52 dst_sel:DWORD dst_unused:UNUSED_PRESERVE src0_sel:BYTE_2// 00000000B3AC: 7E6C1CF9 00021634
	v_cvt_pk_fp8_f32 v56, v53, v54                             // 00000000B3B4: D2A20038 00026D35
	v_cvt_off_f32_i4_sdwa v53, v52 dst_sel:DWORD dst_unused:UNUSED_PRESERVE src0_sel:BYTE_1// 00000000B3BC: 7E6A1CF9 00011634
	v_cvt_off_f32_i4_sdwa v54, v52 dst_sel:DWORD dst_unused:UNUSED_PRESERVE src0_sel:BYTE_3// 00000000B3C4: 7E6C1CF9 00031634
	v_cvt_pk_fp8_f32 v57, v53, v54                             // 00000000B3CC: D2A20039 00026D35
	v_lshrrev_b32_e32 v55, 4, v52                              // 00000000B3D4: 206E6884
	v_cvt_off_f32_i4_e32 v53, v55                              // 00000000B3D8: 7E6A1D37
	v_cvt_off_f32_i4_sdwa v54, v55 dst_sel:DWORD dst_unused:UNUSED_PRESERVE src0_sel:BYTE_2// 00000000B3DC: 7E6C1CF9 00021637
	v_cvt_pk_fp8_f32 v56, v53, v54 op_sel:[0,0,1]              // 00000000B3E4: D2A24038 00026D35
	v_cvt_off_f32_i4_sdwa v53, v55 dst_sel:DWORD dst_unused:UNUSED_PRESERVE src0_sel:BYTE_1// 00000000B3EC: 7E6A1CF9 00011637
	v_cvt_off_f32_i4_sdwa v54, v55 dst_sel:DWORD dst_unused:UNUSED_PRESERVE src0_sel:BYTE_3// 00000000B3F4: 7E6C1CF9 00031637
	v_cvt_pk_fp8_f32 v57, v53, v54 op_sel:[0,0,1]              // 00000000B3FC: D2A24039 00026D35
	v_accvgpr_write_b32 a206, v56                              // 00000000B404: D3D940CE 18000138
	v_accvgpr_write_b32 a207, v57                              // 00000000B40C: D3D940CF 18000139
	s_nop 3                                                    // 00000000B414: BF800003
	v_mfma_f32_16x16x32_fp8_fp8 v[96:99], a[206:207], v[238:239], v[96:99]// 00000000B418: D3F30060 0D83DDCE
	v_mfma_f32_16x16x32_fp8_fp8 v[100:103], a[192:193], v[240:241], v[100:103]// 00000000B420: D3F30064 0D93E1C0
	v_mfma_f32_16x16x32_fp8_fp8 v[100:103], a[194:195], v[242:243], v[100:103]// 00000000B428: D3F30064 0D93E5C2
	buffer_load_dwordx4 a[100:103], v38, s[24:27], 0 offen offset:1024// 00000000B430: E05C1400 80866426
	v_mfma_f32_16x16x32_fp8_fp8 v[100:103], a[196:197], v[244:245], v[100:103]// 00000000B438: D3F30064 0D93E9C4
	v_mfma_f32_16x16x32_fp8_fp8 v[100:103], a[198:199], v[246:247], v[100:103]// 00000000B440: D3F30064 0D93EDC6
	v_mfma_f32_16x16x32_fp8_fp8 v[100:103], a[200:201], v[248:249], v[100:103]// 00000000B448: D3F30064 0D93F1C8
	v_mfma_f32_16x16x32_fp8_fp8 v[100:103], a[202:203], v[250:251], v[100:103]// 00000000B450: D3F30064 0D93F5CA
	v_mfma_f32_16x16x32_fp8_fp8 v[100:103], a[204:205], v[252:253], v[100:103]// 00000000B458: D3F30064 0D93F9CC
	v_mfma_f32_16x16x32_fp8_fp8 v[100:103], a[206:207], v[254:255], v[100:103]// 00000000B460: D3F30064 0D93FDCE
	s_waitcnt vmcnt(14)                                        // 00000000B468: BF8C0F7E
	v_accvgpr_read_b32 v52, a232                               // 00000000B46C: D3D84034 180001E8
	v_cvt_off_f32_i4_e32 v53, v52                              // 00000000B474: 7E6A1D34
	v_cvt_off_f32_i4_sdwa v54, v52 dst_sel:DWORD dst_unused:UNUSED_PRESERVE src0_sel:BYTE_2// 00000000B478: 7E6C1CF9 00021634
	v_cvt_pk_fp8_f32 v56, v53, v54                             // 00000000B480: D2A20038 00026D35
	v_cvt_off_f32_i4_sdwa v53, v52 dst_sel:DWORD dst_unused:UNUSED_PRESERVE src0_sel:BYTE_1// 00000000B488: 7E6A1CF9 00011634
	v_cvt_off_f32_i4_sdwa v54, v52 dst_sel:DWORD dst_unused:UNUSED_PRESERVE src0_sel:BYTE_3// 00000000B490: 7E6C1CF9 00031634
	v_cvt_pk_fp8_f32 v57, v53, v54                             // 00000000B498: D2A20039 00026D35
	v_lshrrev_b32_e32 v55, 4, v52                              // 00000000B4A0: 206E6884
	v_cvt_off_f32_i4_e32 v53, v55                              // 00000000B4A4: 7E6A1D37
	v_cvt_off_f32_i4_sdwa v54, v55 dst_sel:DWORD dst_unused:UNUSED_PRESERVE src0_sel:BYTE_2// 00000000B4A8: 7E6C1CF9 00021637
	v_cvt_pk_fp8_f32 v56, v53, v54 op_sel:[0,0,1]              // 00000000B4B0: D2A24038 00026D35
	v_cvt_off_f32_i4_sdwa v53, v55 dst_sel:DWORD dst_unused:UNUSED_PRESERVE src0_sel:BYTE_1// 00000000B4B8: 7E6A1CF9 00011637
	v_cvt_off_f32_i4_sdwa v54, v55 dst_sel:DWORD dst_unused:UNUSED_PRESERVE src0_sel:BYTE_3// 00000000B4C0: 7E6C1CF9 00031637
	v_cvt_pk_fp8_f32 v57, v53, v54 op_sel:[0,0,1]              // 00000000B4C8: D2A24039 00026D35
	v_accvgpr_write_b32 a208, v56                              // 00000000B4D0: D3D940D0 18000138
	v_accvgpr_write_b32 a209, v57                              // 00000000B4D8: D3D940D1 18000139
	s_nop 3                                                    // 00000000B4E0: BF800003
	v_mfma_f32_16x16x32_fp8_fp8 v[104:107], a[208:209], v[224:225], v[104:107]// 00000000B4E4: D3F30068 0DA3C1D0
	v_accvgpr_read_b32 v52, a233                               // 00000000B4EC: D3D84034 180001E9
	v_cvt_off_f32_i4_e32 v53, v52                              // 00000000B4F4: 7E6A1D34
	v_cvt_off_f32_i4_sdwa v54, v52 dst_sel:DWORD dst_unused:UNUSED_PRESERVE src0_sel:BYTE_2// 00000000B4F8: 7E6C1CF9 00021634
	v_cvt_pk_fp8_f32 v56, v53, v54                             // 00000000B500: D2A20038 00026D35
	v_cvt_off_f32_i4_sdwa v53, v52 dst_sel:DWORD dst_unused:UNUSED_PRESERVE src0_sel:BYTE_1// 00000000B508: 7E6A1CF9 00011634
	v_cvt_off_f32_i4_sdwa v54, v52 dst_sel:DWORD dst_unused:UNUSED_PRESERVE src0_sel:BYTE_3// 00000000B510: 7E6C1CF9 00031634
	v_cvt_pk_fp8_f32 v57, v53, v54                             // 00000000B518: D2A20039 00026D35
	v_lshrrev_b32_e32 v55, 4, v52                              // 00000000B520: 206E6884
	v_cvt_off_f32_i4_e32 v53, v55                              // 00000000B524: 7E6A1D37
	v_cvt_off_f32_i4_sdwa v54, v55 dst_sel:DWORD dst_unused:UNUSED_PRESERVE src0_sel:BYTE_2// 00000000B528: 7E6C1CF9 00021637
	v_cvt_pk_fp8_f32 v56, v53, v54 op_sel:[0,0,1]              // 00000000B530: D2A24038 00026D35
	v_cvt_off_f32_i4_sdwa v53, v55 dst_sel:DWORD dst_unused:UNUSED_PRESERVE src0_sel:BYTE_1// 00000000B538: 7E6A1CF9 00011637
	v_cvt_off_f32_i4_sdwa v54, v55 dst_sel:DWORD dst_unused:UNUSED_PRESERVE src0_sel:BYTE_3// 00000000B540: 7E6C1CF9 00031637
	v_cvt_pk_fp8_f32 v57, v53, v54 op_sel:[0,0,1]              // 00000000B548: D2A24039 00026D35
	v_accvgpr_write_b32 a210, v56                              // 00000000B550: D3D940D2 18000138
	v_accvgpr_write_b32 a211, v57                              // 00000000B558: D3D940D3 18000139
	s_nop 3                                                    // 00000000B560: BF800003
	v_mfma_f32_16x16x32_fp8_fp8 v[104:107], a[210:211], v[226:227], v[104:107]// 00000000B564: D3F30068 0DA3C5D2
	buffer_load_dwordx4 a[104:107], v39, s[24:27], 0 offen     // 00000000B56C: E05C1000 80866827
	v_accvgpr_read_b32 v52, a234                               // 00000000B574: D3D84034 180001EA
	v_cvt_off_f32_i4_e32 v53, v52                              // 00000000B57C: 7E6A1D34
	v_cvt_off_f32_i4_sdwa v54, v52 dst_sel:DWORD dst_unused:UNUSED_PRESERVE src0_sel:BYTE_2// 00000000B580: 7E6C1CF9 00021634
	v_cvt_pk_fp8_f32 v56, v53, v54                             // 00000000B588: D2A20038 00026D35
	v_cvt_off_f32_i4_sdwa v53, v52 dst_sel:DWORD dst_unused:UNUSED_PRESERVE src0_sel:BYTE_1// 00000000B590: 7E6A1CF9 00011634
	v_cvt_off_f32_i4_sdwa v54, v52 dst_sel:DWORD dst_unused:UNUSED_PRESERVE src0_sel:BYTE_3// 00000000B598: 7E6C1CF9 00031634
	v_cvt_pk_fp8_f32 v57, v53, v54                             // 00000000B5A0: D2A20039 00026D35
	v_lshrrev_b32_e32 v55, 4, v52                              // 00000000B5A8: 206E6884
	v_cvt_off_f32_i4_e32 v53, v55                              // 00000000B5AC: 7E6A1D37
	v_cvt_off_f32_i4_sdwa v54, v55 dst_sel:DWORD dst_unused:UNUSED_PRESERVE src0_sel:BYTE_2// 00000000B5B0: 7E6C1CF9 00021637
	v_cvt_pk_fp8_f32 v56, v53, v54 op_sel:[0,0,1]              // 00000000B5B8: D2A24038 00026D35
	v_cvt_off_f32_i4_sdwa v53, v55 dst_sel:DWORD dst_unused:UNUSED_PRESERVE src0_sel:BYTE_1// 00000000B5C0: 7E6A1CF9 00011637
	v_cvt_off_f32_i4_sdwa v54, v55 dst_sel:DWORD dst_unused:UNUSED_PRESERVE src0_sel:BYTE_3// 00000000B5C8: 7E6C1CF9 00031637
	v_cvt_pk_fp8_f32 v57, v53, v54 op_sel:[0,0,1]              // 00000000B5D0: D2A24039 00026D35
	v_accvgpr_write_b32 a212, v56                              // 00000000B5D8: D3D940D4 18000138
	v_accvgpr_write_b32 a213, v57                              // 00000000B5E0: D3D940D5 18000139
	s_nop 3                                                    // 00000000B5E8: BF800003
	v_mfma_f32_16x16x32_fp8_fp8 v[104:107], a[212:213], v[228:229], v[104:107]// 00000000B5EC: D3F30068 0DA3C9D4
	v_accvgpr_read_b32 v52, a235                               // 00000000B5F4: D3D84034 180001EB
	v_cvt_off_f32_i4_e32 v53, v52                              // 00000000B5FC: 7E6A1D34
	v_cvt_off_f32_i4_sdwa v54, v52 dst_sel:DWORD dst_unused:UNUSED_PRESERVE src0_sel:BYTE_2// 00000000B600: 7E6C1CF9 00021634
	v_cvt_pk_fp8_f32 v56, v53, v54                             // 00000000B608: D2A20038 00026D35
	v_cvt_off_f32_i4_sdwa v53, v52 dst_sel:DWORD dst_unused:UNUSED_PRESERVE src0_sel:BYTE_1// 00000000B610: 7E6A1CF9 00011634
	v_cvt_off_f32_i4_sdwa v54, v52 dst_sel:DWORD dst_unused:UNUSED_PRESERVE src0_sel:BYTE_3// 00000000B618: 7E6C1CF9 00031634
	v_cvt_pk_fp8_f32 v57, v53, v54                             // 00000000B620: D2A20039 00026D35
	v_lshrrev_b32_e32 v55, 4, v52                              // 00000000B628: 206E6884
	v_cvt_off_f32_i4_e32 v53, v55                              // 00000000B62C: 7E6A1D37
	v_cvt_off_f32_i4_sdwa v54, v55 dst_sel:DWORD dst_unused:UNUSED_PRESERVE src0_sel:BYTE_2// 00000000B630: 7E6C1CF9 00021637
	v_cvt_pk_fp8_f32 v56, v53, v54 op_sel:[0,0,1]              // 00000000B638: D2A24038 00026D35
	v_cvt_off_f32_i4_sdwa v53, v55 dst_sel:DWORD dst_unused:UNUSED_PRESERVE src0_sel:BYTE_1// 00000000B640: 7E6A1CF9 00011637
	v_cvt_off_f32_i4_sdwa v54, v55 dst_sel:DWORD dst_unused:UNUSED_PRESERVE src0_sel:BYTE_3// 00000000B648: 7E6C1CF9 00031637
	v_cvt_pk_fp8_f32 v57, v53, v54 op_sel:[0,0,1]              // 00000000B650: D2A24039 00026D35
	v_accvgpr_write_b32 a214, v56                              // 00000000B658: D3D940D6 18000138
	v_accvgpr_write_b32 a215, v57                              // 00000000B660: D3D940D7 18000139
	s_nop 3                                                    // 00000000B668: BF800003
	v_mfma_f32_16x16x32_fp8_fp8 v[104:107], a[214:215], v[230:231], v[104:107]// 00000000B66C: D3F30068 0DA3CDD6
	v_accvgpr_read_b32 v52, a236                               // 00000000B674: D3D84034 180001EC
	v_cvt_off_f32_i4_e32 v53, v52                              // 00000000B67C: 7E6A1D34
	v_cvt_off_f32_i4_sdwa v54, v52 dst_sel:DWORD dst_unused:UNUSED_PRESERVE src0_sel:BYTE_2// 00000000B680: 7E6C1CF9 00021634
	v_cvt_pk_fp8_f32 v56, v53, v54                             // 00000000B688: D2A20038 00026D35
	v_cvt_off_f32_i4_sdwa v53, v52 dst_sel:DWORD dst_unused:UNUSED_PRESERVE src0_sel:BYTE_1// 00000000B690: 7E6A1CF9 00011634
	v_cvt_off_f32_i4_sdwa v54, v52 dst_sel:DWORD dst_unused:UNUSED_PRESERVE src0_sel:BYTE_3// 00000000B698: 7E6C1CF9 00031634
	v_cvt_pk_fp8_f32 v57, v53, v54                             // 00000000B6A0: D2A20039 00026D35
	v_lshrrev_b32_e32 v55, 4, v52                              // 00000000B6A8: 206E6884
	v_cvt_off_f32_i4_e32 v53, v55                              // 00000000B6AC: 7E6A1D37
	v_cvt_off_f32_i4_sdwa v54, v55 dst_sel:DWORD dst_unused:UNUSED_PRESERVE src0_sel:BYTE_2// 00000000B6B0: 7E6C1CF9 00021637
	v_cvt_pk_fp8_f32 v56, v53, v54 op_sel:[0,0,1]              // 00000000B6B8: D2A24038 00026D35
	v_cvt_off_f32_i4_sdwa v53, v55 dst_sel:DWORD dst_unused:UNUSED_PRESERVE src0_sel:BYTE_1// 00000000B6C0: 7E6A1CF9 00011637
	v_cvt_off_f32_i4_sdwa v54, v55 dst_sel:DWORD dst_unused:UNUSED_PRESERVE src0_sel:BYTE_3// 00000000B6C8: 7E6C1CF9 00031637
	v_cvt_pk_fp8_f32 v57, v53, v54 op_sel:[0,0,1]              // 00000000B6D0: D2A24039 00026D35
	v_accvgpr_write_b32 a216, v56                              // 00000000B6D8: D3D940D8 18000138
	v_accvgpr_write_b32 a217, v57                              // 00000000B6E0: D3D940D9 18000139
	s_nop 3                                                    // 00000000B6E8: BF800003
	v_mfma_f32_16x16x32_fp8_fp8 v[104:107], a[216:217], v[232:233], v[104:107]// 00000000B6EC: D3F30068 0DA3D1D8
	v_accvgpr_read_b32 v52, a237                               // 00000000B6F4: D3D84034 180001ED
	v_cvt_off_f32_i4_e32 v53, v52                              // 00000000B6FC: 7E6A1D34
	v_cvt_off_f32_i4_sdwa v54, v52 dst_sel:DWORD dst_unused:UNUSED_PRESERVE src0_sel:BYTE_2// 00000000B700: 7E6C1CF9 00021634
	v_cvt_pk_fp8_f32 v56, v53, v54                             // 00000000B708: D2A20038 00026D35
	v_cvt_off_f32_i4_sdwa v53, v52 dst_sel:DWORD dst_unused:UNUSED_PRESERVE src0_sel:BYTE_1// 00000000B710: 7E6A1CF9 00011634
	v_cvt_off_f32_i4_sdwa v54, v52 dst_sel:DWORD dst_unused:UNUSED_PRESERVE src0_sel:BYTE_3// 00000000B718: 7E6C1CF9 00031634
	v_cvt_pk_fp8_f32 v57, v53, v54                             // 00000000B720: D2A20039 00026D35
	v_lshrrev_b32_e32 v55, 4, v52                              // 00000000B728: 206E6884
	v_cvt_off_f32_i4_e32 v53, v55                              // 00000000B72C: 7E6A1D37
	v_cvt_off_f32_i4_sdwa v54, v55 dst_sel:DWORD dst_unused:UNUSED_PRESERVE src0_sel:BYTE_2// 00000000B730: 7E6C1CF9 00021637
	v_cvt_pk_fp8_f32 v56, v53, v54 op_sel:[0,0,1]              // 00000000B738: D2A24038 00026D35
	v_cvt_off_f32_i4_sdwa v53, v55 dst_sel:DWORD dst_unused:UNUSED_PRESERVE src0_sel:BYTE_1// 00000000B740: 7E6A1CF9 00011637
	v_cvt_off_f32_i4_sdwa v54, v55 dst_sel:DWORD dst_unused:UNUSED_PRESERVE src0_sel:BYTE_3// 00000000B748: 7E6C1CF9 00031637
	v_cvt_pk_fp8_f32 v57, v53, v54 op_sel:[0,0,1]              // 00000000B750: D2A24039 00026D35
	v_accvgpr_write_b32 a218, v56                              // 00000000B758: D3D940DA 18000138
	v_accvgpr_write_b32 a219, v57                              // 00000000B760: D3D940DB 18000139
	s_nop 3                                                    // 00000000B768: BF800003
	v_mfma_f32_16x16x32_fp8_fp8 v[104:107], a[218:219], v[234:235], v[104:107]// 00000000B76C: D3F30068 0DA3D5DA
	v_accvgpr_read_b32 v52, a238                               // 00000000B774: D3D84034 180001EE
	v_cvt_off_f32_i4_e32 v53, v52                              // 00000000B77C: 7E6A1D34
	v_cvt_off_f32_i4_sdwa v54, v52 dst_sel:DWORD dst_unused:UNUSED_PRESERVE src0_sel:BYTE_2// 00000000B780: 7E6C1CF9 00021634
	v_cvt_pk_fp8_f32 v56, v53, v54                             // 00000000B788: D2A20038 00026D35
	v_cvt_off_f32_i4_sdwa v53, v52 dst_sel:DWORD dst_unused:UNUSED_PRESERVE src0_sel:BYTE_1// 00000000B790: 7E6A1CF9 00011634
	v_cvt_off_f32_i4_sdwa v54, v52 dst_sel:DWORD dst_unused:UNUSED_PRESERVE src0_sel:BYTE_3// 00000000B798: 7E6C1CF9 00031634
	v_cvt_pk_fp8_f32 v57, v53, v54                             // 00000000B7A0: D2A20039 00026D35
	v_lshrrev_b32_e32 v55, 4, v52                              // 00000000B7A8: 206E6884
	v_cvt_off_f32_i4_e32 v53, v55                              // 00000000B7AC: 7E6A1D37
	v_cvt_off_f32_i4_sdwa v54, v55 dst_sel:DWORD dst_unused:UNUSED_PRESERVE src0_sel:BYTE_2// 00000000B7B0: 7E6C1CF9 00021637
	v_cvt_pk_fp8_f32 v56, v53, v54 op_sel:[0,0,1]              // 00000000B7B8: D2A24038 00026D35
	v_cvt_off_f32_i4_sdwa v53, v55 dst_sel:DWORD dst_unused:UNUSED_PRESERVE src0_sel:BYTE_1// 00000000B7C0: 7E6A1CF9 00011637
	v_cvt_off_f32_i4_sdwa v54, v55 dst_sel:DWORD dst_unused:UNUSED_PRESERVE src0_sel:BYTE_3// 00000000B7C8: 7E6C1CF9 00031637
	v_cvt_pk_fp8_f32 v57, v53, v54 op_sel:[0,0,1]              // 00000000B7D0: D2A24039 00026D35
	v_accvgpr_write_b32 a220, v56                              // 00000000B7D8: D3D940DC 18000138
	v_accvgpr_write_b32 a221, v57                              // 00000000B7E0: D3D940DD 18000139
	s_nop 3                                                    // 00000000B7E8: BF800003
	v_mfma_f32_16x16x32_fp8_fp8 v[104:107], a[220:221], v[236:237], v[104:107]// 00000000B7EC: D3F30068 0DA3D9DC
	v_accvgpr_read_b32 v52, a239                               // 00000000B7F4: D3D84034 180001EF
	v_cvt_off_f32_i4_e32 v53, v52                              // 00000000B7FC: 7E6A1D34
	v_cvt_off_f32_i4_sdwa v54, v52 dst_sel:DWORD dst_unused:UNUSED_PRESERVE src0_sel:BYTE_2// 00000000B800: 7E6C1CF9 00021634
	v_cvt_pk_fp8_f32 v56, v53, v54                             // 00000000B808: D2A20038 00026D35
	v_cvt_off_f32_i4_sdwa v53, v52 dst_sel:DWORD dst_unused:UNUSED_PRESERVE src0_sel:BYTE_1// 00000000B810: 7E6A1CF9 00011634
	v_cvt_off_f32_i4_sdwa v54, v52 dst_sel:DWORD dst_unused:UNUSED_PRESERVE src0_sel:BYTE_3// 00000000B818: 7E6C1CF9 00031634
	v_cvt_pk_fp8_f32 v57, v53, v54                             // 00000000B820: D2A20039 00026D35
	v_lshrrev_b32_e32 v55, 4, v52                              // 00000000B828: 206E6884
	v_cvt_off_f32_i4_e32 v53, v55                              // 00000000B82C: 7E6A1D37
	v_cvt_off_f32_i4_sdwa v54, v55 dst_sel:DWORD dst_unused:UNUSED_PRESERVE src0_sel:BYTE_2// 00000000B830: 7E6C1CF9 00021637
	v_cvt_pk_fp8_f32 v56, v53, v54 op_sel:[0,0,1]              // 00000000B838: D2A24038 00026D35
	v_cvt_off_f32_i4_sdwa v53, v55 dst_sel:DWORD dst_unused:UNUSED_PRESERVE src0_sel:BYTE_1// 00000000B840: 7E6A1CF9 00011637
	v_cvt_off_f32_i4_sdwa v54, v55 dst_sel:DWORD dst_unused:UNUSED_PRESERVE src0_sel:BYTE_3// 00000000B848: 7E6C1CF9 00031637
	v_cvt_pk_fp8_f32 v57, v53, v54 op_sel:[0,0,1]              // 00000000B850: D2A24039 00026D35
	v_accvgpr_write_b32 a222, v56                              // 00000000B858: D3D940DE 18000138
	v_accvgpr_write_b32 a223, v57                              // 00000000B860: D3D940DF 18000139
	s_nop 3                                                    // 00000000B868: BF800003
	v_mfma_f32_16x16x32_fp8_fp8 v[104:107], a[222:223], v[238:239], v[104:107]// 00000000B86C: D3F30068 0DA3DDDE
	v_mfma_f32_16x16x32_fp8_fp8 v[108:111], a[208:209], v[240:241], v[108:111]// 00000000B874: D3F3006C 0DB3E1D0
	v_mfma_f32_16x16x32_fp8_fp8 v[108:111], a[210:211], v[242:243], v[108:111]// 00000000B87C: D3F3006C 0DB3E5D2
	buffer_load_dwordx4 a[108:111], v39, s[24:27], 0 offen offset:1024// 00000000B884: E05C1400 80866C27
	v_mfma_f32_16x16x32_fp8_fp8 v[108:111], a[212:213], v[244:245], v[108:111]// 00000000B88C: D3F3006C 0DB3E9D4
	v_mfma_f32_16x16x32_fp8_fp8 v[108:111], a[214:215], v[246:247], v[108:111]// 00000000B894: D3F3006C 0DB3EDD6
	v_mfma_f32_16x16x32_fp8_fp8 v[108:111], a[216:217], v[248:249], v[108:111]// 00000000B89C: D3F3006C 0DB3F1D8
	v_mfma_f32_16x16x32_fp8_fp8 v[108:111], a[218:219], v[250:251], v[108:111]// 00000000B8A4: D3F3006C 0DB3F5DA
	v_mfma_f32_16x16x32_fp8_fp8 v[108:111], a[220:221], v[252:253], v[108:111]// 00000000B8AC: D3F3006C 0DB3F9DC
	v_mfma_f32_16x16x32_fp8_fp8 v[108:111], a[222:223], v[254:255], v[108:111]// 00000000B8B4: D3F3006C 0DB3FDDE
	s_waitcnt vmcnt(14)                                        // 00000000B8BC: BF8C0F7E
	v_accvgpr_read_b32 v52, a240                               // 00000000B8C0: D3D84034 180001F0
	v_cvt_off_f32_i4_e32 v53, v52                              // 00000000B8C8: 7E6A1D34
	v_cvt_off_f32_i4_sdwa v54, v52 dst_sel:DWORD dst_unused:UNUSED_PRESERVE src0_sel:BYTE_2// 00000000B8CC: 7E6C1CF9 00021634
	v_cvt_pk_fp8_f32 v56, v53, v54                             // 00000000B8D4: D2A20038 00026D35
	v_cvt_off_f32_i4_sdwa v53, v52 dst_sel:DWORD dst_unused:UNUSED_PRESERVE src0_sel:BYTE_1// 00000000B8DC: 7E6A1CF9 00011634
	v_cvt_off_f32_i4_sdwa v54, v52 dst_sel:DWORD dst_unused:UNUSED_PRESERVE src0_sel:BYTE_3// 00000000B8E4: 7E6C1CF9 00031634
	v_cvt_pk_fp8_f32 v57, v53, v54                             // 00000000B8EC: D2A20039 00026D35
	v_lshrrev_b32_e32 v55, 4, v52                              // 00000000B8F4: 206E6884
	v_cvt_off_f32_i4_e32 v53, v55                              // 00000000B8F8: 7E6A1D37
	v_cvt_off_f32_i4_sdwa v54, v55 dst_sel:DWORD dst_unused:UNUSED_PRESERVE src0_sel:BYTE_2// 00000000B8FC: 7E6C1CF9 00021637
	v_cvt_pk_fp8_f32 v56, v53, v54 op_sel:[0,0,1]              // 00000000B904: D2A24038 00026D35
	v_cvt_off_f32_i4_sdwa v53, v55 dst_sel:DWORD dst_unused:UNUSED_PRESERVE src0_sel:BYTE_1// 00000000B90C: 7E6A1CF9 00011637
	v_cvt_off_f32_i4_sdwa v54, v55 dst_sel:DWORD dst_unused:UNUSED_PRESERVE src0_sel:BYTE_3// 00000000B914: 7E6C1CF9 00031637
	v_cvt_pk_fp8_f32 v57, v53, v54 op_sel:[0,0,1]              // 00000000B91C: D2A24039 00026D35
	v_accvgpr_write_b32 a224, v56                              // 00000000B924: D3D940E0 18000138
	v_accvgpr_write_b32 a225, v57                              // 00000000B92C: D3D940E1 18000139
	s_nop 3                                                    // 00000000B934: BF800003
	v_mfma_f32_16x16x32_fp8_fp8 v[112:115], a[224:225], v[224:225], v[112:115]// 00000000B938: D3F30070 0DC3C1E0
	v_accvgpr_read_b32 v52, a241                               // 00000000B940: D3D84034 180001F1
	v_cvt_off_f32_i4_e32 v53, v52                              // 00000000B948: 7E6A1D34
	v_cvt_off_f32_i4_sdwa v54, v52 dst_sel:DWORD dst_unused:UNUSED_PRESERVE src0_sel:BYTE_2// 00000000B94C: 7E6C1CF9 00021634
	v_cvt_pk_fp8_f32 v56, v53, v54                             // 00000000B954: D2A20038 00026D35
	v_cvt_off_f32_i4_sdwa v53, v52 dst_sel:DWORD dst_unused:UNUSED_PRESERVE src0_sel:BYTE_1// 00000000B95C: 7E6A1CF9 00011634
	v_cvt_off_f32_i4_sdwa v54, v52 dst_sel:DWORD dst_unused:UNUSED_PRESERVE src0_sel:BYTE_3// 00000000B964: 7E6C1CF9 00031634
	v_cvt_pk_fp8_f32 v57, v53, v54                             // 00000000B96C: D2A20039 00026D35
	v_lshrrev_b32_e32 v55, 4, v52                              // 00000000B974: 206E6884
	v_cvt_off_f32_i4_e32 v53, v55                              // 00000000B978: 7E6A1D37
	v_cvt_off_f32_i4_sdwa v54, v55 dst_sel:DWORD dst_unused:UNUSED_PRESERVE src0_sel:BYTE_2// 00000000B97C: 7E6C1CF9 00021637
	v_cvt_pk_fp8_f32 v56, v53, v54 op_sel:[0,0,1]              // 00000000B984: D2A24038 00026D35
	v_cvt_off_f32_i4_sdwa v53, v55 dst_sel:DWORD dst_unused:UNUSED_PRESERVE src0_sel:BYTE_1// 00000000B98C: 7E6A1CF9 00011637
	v_cvt_off_f32_i4_sdwa v54, v55 dst_sel:DWORD dst_unused:UNUSED_PRESERVE src0_sel:BYTE_3// 00000000B994: 7E6C1CF9 00031637
	v_cvt_pk_fp8_f32 v57, v53, v54 op_sel:[0,0,1]              // 00000000B99C: D2A24039 00026D35
	v_accvgpr_write_b32 a226, v56                              // 00000000B9A4: D3D940E2 18000138
	v_accvgpr_write_b32 a227, v57                              // 00000000B9AC: D3D940E3 18000139
	s_nop 3                                                    // 00000000B9B4: BF800003
	v_mfma_f32_16x16x32_fp8_fp8 v[112:115], a[226:227], v[226:227], v[112:115]// 00000000B9B8: D3F30070 0DC3C5E2
	buffer_load_dwordx4 a[112:115], v40, s[24:27], 0 offen     // 00000000B9C0: E05C1000 80867028
	v_accvgpr_read_b32 v52, a242                               // 00000000B9C8: D3D84034 180001F2
	v_cvt_off_f32_i4_e32 v53, v52                              // 00000000B9D0: 7E6A1D34
	v_cvt_off_f32_i4_sdwa v54, v52 dst_sel:DWORD dst_unused:UNUSED_PRESERVE src0_sel:BYTE_2// 00000000B9D4: 7E6C1CF9 00021634
	v_cvt_pk_fp8_f32 v56, v53, v54                             // 00000000B9DC: D2A20038 00026D35
	v_cvt_off_f32_i4_sdwa v53, v52 dst_sel:DWORD dst_unused:UNUSED_PRESERVE src0_sel:BYTE_1// 00000000B9E4: 7E6A1CF9 00011634
	v_cvt_off_f32_i4_sdwa v54, v52 dst_sel:DWORD dst_unused:UNUSED_PRESERVE src0_sel:BYTE_3// 00000000B9EC: 7E6C1CF9 00031634
	v_cvt_pk_fp8_f32 v57, v53, v54                             // 00000000B9F4: D2A20039 00026D35
	v_lshrrev_b32_e32 v55, 4, v52                              // 00000000B9FC: 206E6884
	v_cvt_off_f32_i4_e32 v53, v55                              // 00000000BA00: 7E6A1D37
	v_cvt_off_f32_i4_sdwa v54, v55 dst_sel:DWORD dst_unused:UNUSED_PRESERVE src0_sel:BYTE_2// 00000000BA04: 7E6C1CF9 00021637
	v_cvt_pk_fp8_f32 v56, v53, v54 op_sel:[0,0,1]              // 00000000BA0C: D2A24038 00026D35
	v_cvt_off_f32_i4_sdwa v53, v55 dst_sel:DWORD dst_unused:UNUSED_PRESERVE src0_sel:BYTE_1// 00000000BA14: 7E6A1CF9 00011637
	v_cvt_off_f32_i4_sdwa v54, v55 dst_sel:DWORD dst_unused:UNUSED_PRESERVE src0_sel:BYTE_3// 00000000BA1C: 7E6C1CF9 00031637
	v_cvt_pk_fp8_f32 v57, v53, v54 op_sel:[0,0,1]              // 00000000BA24: D2A24039 00026D35
	v_accvgpr_write_b32 a228, v56                              // 00000000BA2C: D3D940E4 18000138
	v_accvgpr_write_b32 a229, v57                              // 00000000BA34: D3D940E5 18000139
	s_nop 3                                                    // 00000000BA3C: BF800003
	v_mfma_f32_16x16x32_fp8_fp8 v[112:115], a[228:229], v[228:229], v[112:115]// 00000000BA40: D3F30070 0DC3C9E4
	v_accvgpr_read_b32 v52, a243                               // 00000000BA48: D3D84034 180001F3
	v_cvt_off_f32_i4_e32 v53, v52                              // 00000000BA50: 7E6A1D34
	v_cvt_off_f32_i4_sdwa v54, v52 dst_sel:DWORD dst_unused:UNUSED_PRESERVE src0_sel:BYTE_2// 00000000BA54: 7E6C1CF9 00021634
	v_cvt_pk_fp8_f32 v56, v53, v54                             // 00000000BA5C: D2A20038 00026D35
	v_cvt_off_f32_i4_sdwa v53, v52 dst_sel:DWORD dst_unused:UNUSED_PRESERVE src0_sel:BYTE_1// 00000000BA64: 7E6A1CF9 00011634
	v_cvt_off_f32_i4_sdwa v54, v52 dst_sel:DWORD dst_unused:UNUSED_PRESERVE src0_sel:BYTE_3// 00000000BA6C: 7E6C1CF9 00031634
	v_cvt_pk_fp8_f32 v57, v53, v54                             // 00000000BA74: D2A20039 00026D35
	v_lshrrev_b32_e32 v55, 4, v52                              // 00000000BA7C: 206E6884
	v_cvt_off_f32_i4_e32 v53, v55                              // 00000000BA80: 7E6A1D37
	v_cvt_off_f32_i4_sdwa v54, v55 dst_sel:DWORD dst_unused:UNUSED_PRESERVE src0_sel:BYTE_2// 00000000BA84: 7E6C1CF9 00021637
	v_cvt_pk_fp8_f32 v56, v53, v54 op_sel:[0,0,1]              // 00000000BA8C: D2A24038 00026D35
	v_cvt_off_f32_i4_sdwa v53, v55 dst_sel:DWORD dst_unused:UNUSED_PRESERVE src0_sel:BYTE_1// 00000000BA94: 7E6A1CF9 00011637
	v_cvt_off_f32_i4_sdwa v54, v55 dst_sel:DWORD dst_unused:UNUSED_PRESERVE src0_sel:BYTE_3// 00000000BA9C: 7E6C1CF9 00031637
	v_cvt_pk_fp8_f32 v57, v53, v54 op_sel:[0,0,1]              // 00000000BAA4: D2A24039 00026D35
	v_accvgpr_write_b32 a230, v56                              // 00000000BAAC: D3D940E6 18000138
	v_accvgpr_write_b32 a231, v57                              // 00000000BAB4: D3D940E7 18000139
	s_nop 3                                                    // 00000000BABC: BF800003
	v_mfma_f32_16x16x32_fp8_fp8 v[112:115], a[230:231], v[230:231], v[112:115]// 00000000BAC0: D3F30070 0DC3CDE6
	v_accvgpr_read_b32 v52, a244                               // 00000000BAC8: D3D84034 180001F4
	v_cvt_off_f32_i4_e32 v53, v52                              // 00000000BAD0: 7E6A1D34
	v_cvt_off_f32_i4_sdwa v54, v52 dst_sel:DWORD dst_unused:UNUSED_PRESERVE src0_sel:BYTE_2// 00000000BAD4: 7E6C1CF9 00021634
	v_cvt_pk_fp8_f32 v56, v53, v54                             // 00000000BADC: D2A20038 00026D35
	v_cvt_off_f32_i4_sdwa v53, v52 dst_sel:DWORD dst_unused:UNUSED_PRESERVE src0_sel:BYTE_1// 00000000BAE4: 7E6A1CF9 00011634
	v_cvt_off_f32_i4_sdwa v54, v52 dst_sel:DWORD dst_unused:UNUSED_PRESERVE src0_sel:BYTE_3// 00000000BAEC: 7E6C1CF9 00031634
	v_cvt_pk_fp8_f32 v57, v53, v54                             // 00000000BAF4: D2A20039 00026D35
	v_lshrrev_b32_e32 v55, 4, v52                              // 00000000BAFC: 206E6884
	v_cvt_off_f32_i4_e32 v53, v55                              // 00000000BB00: 7E6A1D37
	v_cvt_off_f32_i4_sdwa v54, v55 dst_sel:DWORD dst_unused:UNUSED_PRESERVE src0_sel:BYTE_2// 00000000BB04: 7E6C1CF9 00021637
	v_cvt_pk_fp8_f32 v56, v53, v54 op_sel:[0,0,1]              // 00000000BB0C: D2A24038 00026D35
	v_cvt_off_f32_i4_sdwa v53, v55 dst_sel:DWORD dst_unused:UNUSED_PRESERVE src0_sel:BYTE_1// 00000000BB14: 7E6A1CF9 00011637
	v_cvt_off_f32_i4_sdwa v54, v55 dst_sel:DWORD dst_unused:UNUSED_PRESERVE src0_sel:BYTE_3// 00000000BB1C: 7E6C1CF9 00031637
	v_cvt_pk_fp8_f32 v57, v53, v54 op_sel:[0,0,1]              // 00000000BB24: D2A24039 00026D35
	v_accvgpr_write_b32 a232, v56                              // 00000000BB2C: D3D940E8 18000138
	v_accvgpr_write_b32 a233, v57                              // 00000000BB34: D3D940E9 18000139
	s_nop 3                                                    // 00000000BB3C: BF800003
	v_mfma_f32_16x16x32_fp8_fp8 v[112:115], a[232:233], v[232:233], v[112:115]// 00000000BB40: D3F30070 0DC3D1E8
	v_accvgpr_read_b32 v52, a245                               // 00000000BB48: D3D84034 180001F5
	v_cvt_off_f32_i4_e32 v53, v52                              // 00000000BB50: 7E6A1D34
	v_cvt_off_f32_i4_sdwa v54, v52 dst_sel:DWORD dst_unused:UNUSED_PRESERVE src0_sel:BYTE_2// 00000000BB54: 7E6C1CF9 00021634
	v_cvt_pk_fp8_f32 v56, v53, v54                             // 00000000BB5C: D2A20038 00026D35
	v_cvt_off_f32_i4_sdwa v53, v52 dst_sel:DWORD dst_unused:UNUSED_PRESERVE src0_sel:BYTE_1// 00000000BB64: 7E6A1CF9 00011634
	v_cvt_off_f32_i4_sdwa v54, v52 dst_sel:DWORD dst_unused:UNUSED_PRESERVE src0_sel:BYTE_3// 00000000BB6C: 7E6C1CF9 00031634
	v_cvt_pk_fp8_f32 v57, v53, v54                             // 00000000BB74: D2A20039 00026D35
	v_lshrrev_b32_e32 v55, 4, v52                              // 00000000BB7C: 206E6884
	v_cvt_off_f32_i4_e32 v53, v55                              // 00000000BB80: 7E6A1D37
	v_cvt_off_f32_i4_sdwa v54, v55 dst_sel:DWORD dst_unused:UNUSED_PRESERVE src0_sel:BYTE_2// 00000000BB84: 7E6C1CF9 00021637
	v_cvt_pk_fp8_f32 v56, v53, v54 op_sel:[0,0,1]              // 00000000BB8C: D2A24038 00026D35
	v_cvt_off_f32_i4_sdwa v53, v55 dst_sel:DWORD dst_unused:UNUSED_PRESERVE src0_sel:BYTE_1// 00000000BB94: 7E6A1CF9 00011637
	v_cvt_off_f32_i4_sdwa v54, v55 dst_sel:DWORD dst_unused:UNUSED_PRESERVE src0_sel:BYTE_3// 00000000BB9C: 7E6C1CF9 00031637
	v_cvt_pk_fp8_f32 v57, v53, v54 op_sel:[0,0,1]              // 00000000BBA4: D2A24039 00026D35
	v_accvgpr_write_b32 a234, v56                              // 00000000BBAC: D3D940EA 18000138
	v_accvgpr_write_b32 a235, v57                              // 00000000BBB4: D3D940EB 18000139
	s_nop 3                                                    // 00000000BBBC: BF800003
	v_mfma_f32_16x16x32_fp8_fp8 v[112:115], a[234:235], v[234:235], v[112:115]// 00000000BBC0: D3F30070 0DC3D5EA
	v_accvgpr_read_b32 v52, a246                               // 00000000BBC8: D3D84034 180001F6
	v_cvt_off_f32_i4_e32 v53, v52                              // 00000000BBD0: 7E6A1D34
	v_cvt_off_f32_i4_sdwa v54, v52 dst_sel:DWORD dst_unused:UNUSED_PRESERVE src0_sel:BYTE_2// 00000000BBD4: 7E6C1CF9 00021634
	v_cvt_pk_fp8_f32 v56, v53, v54                             // 00000000BBDC: D2A20038 00026D35
	v_cvt_off_f32_i4_sdwa v53, v52 dst_sel:DWORD dst_unused:UNUSED_PRESERVE src0_sel:BYTE_1// 00000000BBE4: 7E6A1CF9 00011634
	v_cvt_off_f32_i4_sdwa v54, v52 dst_sel:DWORD dst_unused:UNUSED_PRESERVE src0_sel:BYTE_3// 00000000BBEC: 7E6C1CF9 00031634
	v_cvt_pk_fp8_f32 v57, v53, v54                             // 00000000BBF4: D2A20039 00026D35
	v_lshrrev_b32_e32 v55, 4, v52                              // 00000000BBFC: 206E6884
	v_cvt_off_f32_i4_e32 v53, v55                              // 00000000BC00: 7E6A1D37
	v_cvt_off_f32_i4_sdwa v54, v55 dst_sel:DWORD dst_unused:UNUSED_PRESERVE src0_sel:BYTE_2// 00000000BC04: 7E6C1CF9 00021637
	v_cvt_pk_fp8_f32 v56, v53, v54 op_sel:[0,0,1]              // 00000000BC0C: D2A24038 00026D35
	v_cvt_off_f32_i4_sdwa v53, v55 dst_sel:DWORD dst_unused:UNUSED_PRESERVE src0_sel:BYTE_1// 00000000BC14: 7E6A1CF9 00011637
	v_cvt_off_f32_i4_sdwa v54, v55 dst_sel:DWORD dst_unused:UNUSED_PRESERVE src0_sel:BYTE_3// 00000000BC1C: 7E6C1CF9 00031637
	v_cvt_pk_fp8_f32 v57, v53, v54 op_sel:[0,0,1]              // 00000000BC24: D2A24039 00026D35
	v_accvgpr_write_b32 a236, v56                              // 00000000BC2C: D3D940EC 18000138
	v_accvgpr_write_b32 a237, v57                              // 00000000BC34: D3D940ED 18000139
	s_nop 3                                                    // 00000000BC3C: BF800003
	v_mfma_f32_16x16x32_fp8_fp8 v[112:115], a[236:237], v[236:237], v[112:115]// 00000000BC40: D3F30070 0DC3D9EC
	v_accvgpr_read_b32 v52, a247                               // 00000000BC48: D3D84034 180001F7
	v_cvt_off_f32_i4_e32 v53, v52                              // 00000000BC50: 7E6A1D34
	v_cvt_off_f32_i4_sdwa v54, v52 dst_sel:DWORD dst_unused:UNUSED_PRESERVE src0_sel:BYTE_2// 00000000BC54: 7E6C1CF9 00021634
	v_cvt_pk_fp8_f32 v56, v53, v54                             // 00000000BC5C: D2A20038 00026D35
	v_cvt_off_f32_i4_sdwa v53, v52 dst_sel:DWORD dst_unused:UNUSED_PRESERVE src0_sel:BYTE_1// 00000000BC64: 7E6A1CF9 00011634
	v_cvt_off_f32_i4_sdwa v54, v52 dst_sel:DWORD dst_unused:UNUSED_PRESERVE src0_sel:BYTE_3// 00000000BC6C: 7E6C1CF9 00031634
	v_cvt_pk_fp8_f32 v57, v53, v54                             // 00000000BC74: D2A20039 00026D35
	v_lshrrev_b32_e32 v55, 4, v52                              // 00000000BC7C: 206E6884
	v_cvt_off_f32_i4_e32 v53, v55                              // 00000000BC80: 7E6A1D37
	v_cvt_off_f32_i4_sdwa v54, v55 dst_sel:DWORD dst_unused:UNUSED_PRESERVE src0_sel:BYTE_2// 00000000BC84: 7E6C1CF9 00021637
	v_cvt_pk_fp8_f32 v56, v53, v54 op_sel:[0,0,1]              // 00000000BC8C: D2A24038 00026D35
	v_cvt_off_f32_i4_sdwa v53, v55 dst_sel:DWORD dst_unused:UNUSED_PRESERVE src0_sel:BYTE_1// 00000000BC94: 7E6A1CF9 00011637
	v_cvt_off_f32_i4_sdwa v54, v55 dst_sel:DWORD dst_unused:UNUSED_PRESERVE src0_sel:BYTE_3// 00000000BC9C: 7E6C1CF9 00031637
	v_cvt_pk_fp8_f32 v57, v53, v54 op_sel:[0,0,1]              // 00000000BCA4: D2A24039 00026D35
	v_accvgpr_write_b32 a238, v56                              // 00000000BCAC: D3D940EE 18000138
	v_accvgpr_write_b32 a239, v57                              // 00000000BCB4: D3D940EF 18000139
	s_nop 3                                                    // 00000000BCBC: BF800003
	v_mfma_f32_16x16x32_fp8_fp8 v[112:115], a[238:239], v[238:239], v[112:115]// 00000000BCC0: D3F30070 0DC3DDEE
	v_mfma_f32_16x16x32_fp8_fp8 v[116:119], a[224:225], v[240:241], v[116:119]// 00000000BCC8: D3F30074 0DD3E1E0
	v_mfma_f32_16x16x32_fp8_fp8 v[116:119], a[226:227], v[242:243], v[116:119]// 00000000BCD0: D3F30074 0DD3E5E2
	buffer_load_dwordx4 a[116:119], v40, s[24:27], 0 offen offset:1024// 00000000BCD8: E05C1400 80867428
	v_mfma_f32_16x16x32_fp8_fp8 v[116:119], a[228:229], v[244:245], v[116:119]// 00000000BCE0: D3F30074 0DD3E9E4
	v_mfma_f32_16x16x32_fp8_fp8 v[116:119], a[230:231], v[246:247], v[116:119]// 00000000BCE8: D3F30074 0DD3EDE6
	v_mfma_f32_16x16x32_fp8_fp8 v[116:119], a[232:233], v[248:249], v[116:119]// 00000000BCF0: D3F30074 0DD3F1E8
	v_mfma_f32_16x16x32_fp8_fp8 v[116:119], a[234:235], v[250:251], v[116:119]// 00000000BCF8: D3F30074 0DD3F5EA
	v_mfma_f32_16x16x32_fp8_fp8 v[116:119], a[236:237], v[252:253], v[116:119]// 00000000BD00: D3F30074 0DD3F9EC
	v_mfma_f32_16x16x32_fp8_fp8 v[116:119], a[238:239], v[254:255], v[116:119]// 00000000BD08: D3F30074 0DD3FDEE
	s_waitcnt vmcnt(14)                                        // 00000000BD10: BF8C0F7E
	v_accvgpr_read_b32 v52, a248                               // 00000000BD14: D3D84034 180001F8
	v_cvt_off_f32_i4_e32 v53, v52                              // 00000000BD1C: 7E6A1D34
	v_cvt_off_f32_i4_sdwa v54, v52 dst_sel:DWORD dst_unused:UNUSED_PRESERVE src0_sel:BYTE_2// 00000000BD20: 7E6C1CF9 00021634
	v_cvt_pk_fp8_f32 v56, v53, v54                             // 00000000BD28: D2A20038 00026D35
	v_cvt_off_f32_i4_sdwa v53, v52 dst_sel:DWORD dst_unused:UNUSED_PRESERVE src0_sel:BYTE_1// 00000000BD30: 7E6A1CF9 00011634
	v_cvt_off_f32_i4_sdwa v54, v52 dst_sel:DWORD dst_unused:UNUSED_PRESERVE src0_sel:BYTE_3// 00000000BD38: 7E6C1CF9 00031634
	v_cvt_pk_fp8_f32 v57, v53, v54                             // 00000000BD40: D2A20039 00026D35
	v_lshrrev_b32_e32 v55, 4, v52                              // 00000000BD48: 206E6884
	v_cvt_off_f32_i4_e32 v53, v55                              // 00000000BD4C: 7E6A1D37
	v_cvt_off_f32_i4_sdwa v54, v55 dst_sel:DWORD dst_unused:UNUSED_PRESERVE src0_sel:BYTE_2// 00000000BD50: 7E6C1CF9 00021637
	v_cvt_pk_fp8_f32 v56, v53, v54 op_sel:[0,0,1]              // 00000000BD58: D2A24038 00026D35
	v_cvt_off_f32_i4_sdwa v53, v55 dst_sel:DWORD dst_unused:UNUSED_PRESERVE src0_sel:BYTE_1// 00000000BD60: 7E6A1CF9 00011637
	v_cvt_off_f32_i4_sdwa v54, v55 dst_sel:DWORD dst_unused:UNUSED_PRESERVE src0_sel:BYTE_3// 00000000BD68: 7E6C1CF9 00031637
	v_cvt_pk_fp8_f32 v57, v53, v54 op_sel:[0,0,1]              // 00000000BD70: D2A24039 00026D35
	v_accvgpr_write_b32 a240, v56                              // 00000000BD78: D3D940F0 18000138
	v_accvgpr_write_b32 a241, v57                              // 00000000BD80: D3D940F1 18000139
	s_nop 3                                                    // 00000000BD88: BF800003
	v_mfma_f32_16x16x32_fp8_fp8 v[120:123], a[240:241], v[224:225], v[120:123]// 00000000BD8C: D3F30078 0DE3C1F0
	v_accvgpr_read_b32 v52, a249                               // 00000000BD94: D3D84034 180001F9
	v_cvt_off_f32_i4_e32 v53, v52                              // 00000000BD9C: 7E6A1D34
	v_cvt_off_f32_i4_sdwa v54, v52 dst_sel:DWORD dst_unused:UNUSED_PRESERVE src0_sel:BYTE_2// 00000000BDA0: 7E6C1CF9 00021634
	v_cvt_pk_fp8_f32 v56, v53, v54                             // 00000000BDA8: D2A20038 00026D35
	v_cvt_off_f32_i4_sdwa v53, v52 dst_sel:DWORD dst_unused:UNUSED_PRESERVE src0_sel:BYTE_1// 00000000BDB0: 7E6A1CF9 00011634
	v_cvt_off_f32_i4_sdwa v54, v52 dst_sel:DWORD dst_unused:UNUSED_PRESERVE src0_sel:BYTE_3// 00000000BDB8: 7E6C1CF9 00031634
	v_cvt_pk_fp8_f32 v57, v53, v54                             // 00000000BDC0: D2A20039 00026D35
	v_lshrrev_b32_e32 v55, 4, v52                              // 00000000BDC8: 206E6884
	v_cvt_off_f32_i4_e32 v53, v55                              // 00000000BDCC: 7E6A1D37
	v_cvt_off_f32_i4_sdwa v54, v55 dst_sel:DWORD dst_unused:UNUSED_PRESERVE src0_sel:BYTE_2// 00000000BDD0: 7E6C1CF9 00021637
	v_cvt_pk_fp8_f32 v56, v53, v54 op_sel:[0,0,1]              // 00000000BDD8: D2A24038 00026D35
	v_cvt_off_f32_i4_sdwa v53, v55 dst_sel:DWORD dst_unused:UNUSED_PRESERVE src0_sel:BYTE_1// 00000000BDE0: 7E6A1CF9 00011637
	v_cvt_off_f32_i4_sdwa v54, v55 dst_sel:DWORD dst_unused:UNUSED_PRESERVE src0_sel:BYTE_3// 00000000BDE8: 7E6C1CF9 00031637
	v_cvt_pk_fp8_f32 v57, v53, v54 op_sel:[0,0,1]              // 00000000BDF0: D2A24039 00026D35
	v_accvgpr_write_b32 a242, v56                              // 00000000BDF8: D3D940F2 18000138
	v_accvgpr_write_b32 a243, v57                              // 00000000BE00: D3D940F3 18000139
	s_nop 3                                                    // 00000000BE08: BF800003
	v_mfma_f32_16x16x32_fp8_fp8 v[120:123], a[242:243], v[226:227], v[120:123]// 00000000BE0C: D3F30078 0DE3C5F2
	buffer_load_dwordx4 a[120:123], v41, s[24:27], 0 offen     // 00000000BE14: E05C1000 80867829
	v_accvgpr_read_b32 v52, a250                               // 00000000BE1C: D3D84034 180001FA
	v_cvt_off_f32_i4_e32 v53, v52                              // 00000000BE24: 7E6A1D34
	v_cvt_off_f32_i4_sdwa v54, v52 dst_sel:DWORD dst_unused:UNUSED_PRESERVE src0_sel:BYTE_2// 00000000BE28: 7E6C1CF9 00021634
	v_cvt_pk_fp8_f32 v56, v53, v54                             // 00000000BE30: D2A20038 00026D35
	v_cvt_off_f32_i4_sdwa v53, v52 dst_sel:DWORD dst_unused:UNUSED_PRESERVE src0_sel:BYTE_1// 00000000BE38: 7E6A1CF9 00011634
	v_cvt_off_f32_i4_sdwa v54, v52 dst_sel:DWORD dst_unused:UNUSED_PRESERVE src0_sel:BYTE_3// 00000000BE40: 7E6C1CF9 00031634
	v_cvt_pk_fp8_f32 v57, v53, v54                             // 00000000BE48: D2A20039 00026D35
	v_lshrrev_b32_e32 v55, 4, v52                              // 00000000BE50: 206E6884
	v_cvt_off_f32_i4_e32 v53, v55                              // 00000000BE54: 7E6A1D37
	v_cvt_off_f32_i4_sdwa v54, v55 dst_sel:DWORD dst_unused:UNUSED_PRESERVE src0_sel:BYTE_2// 00000000BE58: 7E6C1CF9 00021637
	v_cvt_pk_fp8_f32 v56, v53, v54 op_sel:[0,0,1]              // 00000000BE60: D2A24038 00026D35
	v_cvt_off_f32_i4_sdwa v53, v55 dst_sel:DWORD dst_unused:UNUSED_PRESERVE src0_sel:BYTE_1// 00000000BE68: 7E6A1CF9 00011637
	v_cvt_off_f32_i4_sdwa v54, v55 dst_sel:DWORD dst_unused:UNUSED_PRESERVE src0_sel:BYTE_3// 00000000BE70: 7E6C1CF9 00031637
	v_cvt_pk_fp8_f32 v57, v53, v54 op_sel:[0,0,1]              // 00000000BE78: D2A24039 00026D35
	v_accvgpr_write_b32 a244, v56                              // 00000000BE80: D3D940F4 18000138
	v_accvgpr_write_b32 a245, v57                              // 00000000BE88: D3D940F5 18000139
	s_nop 3                                                    // 00000000BE90: BF800003
	v_mfma_f32_16x16x32_fp8_fp8 v[120:123], a[244:245], v[228:229], v[120:123]// 00000000BE94: D3F30078 0DE3C9F4
	v_accvgpr_read_b32 v52, a251                               // 00000000BE9C: D3D84034 180001FB
	v_cvt_off_f32_i4_e32 v53, v52                              // 00000000BEA4: 7E6A1D34
	v_cvt_off_f32_i4_sdwa v54, v52 dst_sel:DWORD dst_unused:UNUSED_PRESERVE src0_sel:BYTE_2// 00000000BEA8: 7E6C1CF9 00021634
	v_cvt_pk_fp8_f32 v56, v53, v54                             // 00000000BEB0: D2A20038 00026D35
	v_cvt_off_f32_i4_sdwa v53, v52 dst_sel:DWORD dst_unused:UNUSED_PRESERVE src0_sel:BYTE_1// 00000000BEB8: 7E6A1CF9 00011634
	v_cvt_off_f32_i4_sdwa v54, v52 dst_sel:DWORD dst_unused:UNUSED_PRESERVE src0_sel:BYTE_3// 00000000BEC0: 7E6C1CF9 00031634
	v_cvt_pk_fp8_f32 v57, v53, v54                             // 00000000BEC8: D2A20039 00026D35
	v_lshrrev_b32_e32 v55, 4, v52                              // 00000000BED0: 206E6884
	v_cvt_off_f32_i4_e32 v53, v55                              // 00000000BED4: 7E6A1D37
	v_cvt_off_f32_i4_sdwa v54, v55 dst_sel:DWORD dst_unused:UNUSED_PRESERVE src0_sel:BYTE_2// 00000000BED8: 7E6C1CF9 00021637
	v_cvt_pk_fp8_f32 v56, v53, v54 op_sel:[0,0,1]              // 00000000BEE0: D2A24038 00026D35
	v_cvt_off_f32_i4_sdwa v53, v55 dst_sel:DWORD dst_unused:UNUSED_PRESERVE src0_sel:BYTE_1// 00000000BEE8: 7E6A1CF9 00011637
	v_cvt_off_f32_i4_sdwa v54, v55 dst_sel:DWORD dst_unused:UNUSED_PRESERVE src0_sel:BYTE_3// 00000000BEF0: 7E6C1CF9 00031637
	v_cvt_pk_fp8_f32 v57, v53, v54 op_sel:[0,0,1]              // 00000000BEF8: D2A24039 00026D35
	v_accvgpr_write_b32 a246, v56                              // 00000000BF00: D3D940F6 18000138
	v_accvgpr_write_b32 a247, v57                              // 00000000BF08: D3D940F7 18000139
	s_nop 3                                                    // 00000000BF10: BF800003
	v_mfma_f32_16x16x32_fp8_fp8 v[120:123], a[246:247], v[230:231], v[120:123]// 00000000BF14: D3F30078 0DE3CDF6
	v_accvgpr_read_b32 v52, a252                               // 00000000BF1C: D3D84034 180001FC
	v_cvt_off_f32_i4_e32 v53, v52                              // 00000000BF24: 7E6A1D34
	v_cvt_off_f32_i4_sdwa v54, v52 dst_sel:DWORD dst_unused:UNUSED_PRESERVE src0_sel:BYTE_2// 00000000BF28: 7E6C1CF9 00021634
	v_cvt_pk_fp8_f32 v56, v53, v54                             // 00000000BF30: D2A20038 00026D35
	v_cvt_off_f32_i4_sdwa v53, v52 dst_sel:DWORD dst_unused:UNUSED_PRESERVE src0_sel:BYTE_1// 00000000BF38: 7E6A1CF9 00011634
	v_cvt_off_f32_i4_sdwa v54, v52 dst_sel:DWORD dst_unused:UNUSED_PRESERVE src0_sel:BYTE_3// 00000000BF40: 7E6C1CF9 00031634
	v_cvt_pk_fp8_f32 v57, v53, v54                             // 00000000BF48: D2A20039 00026D35
	v_lshrrev_b32_e32 v55, 4, v52                              // 00000000BF50: 206E6884
	v_cvt_off_f32_i4_e32 v53, v55                              // 00000000BF54: 7E6A1D37
	v_cvt_off_f32_i4_sdwa v54, v55 dst_sel:DWORD dst_unused:UNUSED_PRESERVE src0_sel:BYTE_2// 00000000BF58: 7E6C1CF9 00021637
	v_cvt_pk_fp8_f32 v56, v53, v54 op_sel:[0,0,1]              // 00000000BF60: D2A24038 00026D35
	v_cvt_off_f32_i4_sdwa v53, v55 dst_sel:DWORD dst_unused:UNUSED_PRESERVE src0_sel:BYTE_1// 00000000BF68: 7E6A1CF9 00011637
	v_cvt_off_f32_i4_sdwa v54, v55 dst_sel:DWORD dst_unused:UNUSED_PRESERVE src0_sel:BYTE_3// 00000000BF70: 7E6C1CF9 00031637
	v_cvt_pk_fp8_f32 v57, v53, v54 op_sel:[0,0,1]              // 00000000BF78: D2A24039 00026D35
	v_accvgpr_write_b32 a248, v56                              // 00000000BF80: D3D940F8 18000138
	v_accvgpr_write_b32 a249, v57                              // 00000000BF88: D3D940F9 18000139
	s_nop 3                                                    // 00000000BF90: BF800003
	v_mfma_f32_16x16x32_fp8_fp8 v[120:123], a[248:249], v[232:233], v[120:123]// 00000000BF94: D3F30078 0DE3D1F8
	v_accvgpr_read_b32 v52, a253                               // 00000000BF9C: D3D84034 180001FD
	v_cvt_off_f32_i4_e32 v53, v52                              // 00000000BFA4: 7E6A1D34
	v_cvt_off_f32_i4_sdwa v54, v52 dst_sel:DWORD dst_unused:UNUSED_PRESERVE src0_sel:BYTE_2// 00000000BFA8: 7E6C1CF9 00021634
	v_cvt_pk_fp8_f32 v56, v53, v54                             // 00000000BFB0: D2A20038 00026D35
	v_cvt_off_f32_i4_sdwa v53, v52 dst_sel:DWORD dst_unused:UNUSED_PRESERVE src0_sel:BYTE_1// 00000000BFB8: 7E6A1CF9 00011634
	v_cvt_off_f32_i4_sdwa v54, v52 dst_sel:DWORD dst_unused:UNUSED_PRESERVE src0_sel:BYTE_3// 00000000BFC0: 7E6C1CF9 00031634
	v_cvt_pk_fp8_f32 v57, v53, v54                             // 00000000BFC8: D2A20039 00026D35
	v_lshrrev_b32_e32 v55, 4, v52                              // 00000000BFD0: 206E6884
	v_cvt_off_f32_i4_e32 v53, v55                              // 00000000BFD4: 7E6A1D37
	v_cvt_off_f32_i4_sdwa v54, v55 dst_sel:DWORD dst_unused:UNUSED_PRESERVE src0_sel:BYTE_2// 00000000BFD8: 7E6C1CF9 00021637
	v_cvt_pk_fp8_f32 v56, v53, v54 op_sel:[0,0,1]              // 00000000BFE0: D2A24038 00026D35
	v_cvt_off_f32_i4_sdwa v53, v55 dst_sel:DWORD dst_unused:UNUSED_PRESERVE src0_sel:BYTE_1// 00000000BFE8: 7E6A1CF9 00011637
	v_cvt_off_f32_i4_sdwa v54, v55 dst_sel:DWORD dst_unused:UNUSED_PRESERVE src0_sel:BYTE_3// 00000000BFF0: 7E6C1CF9 00031637
	v_cvt_pk_fp8_f32 v57, v53, v54 op_sel:[0,0,1]              // 00000000BFF8: D2A24039 00026D35
	v_accvgpr_write_b32 a250, v56                              // 00000000C000: D3D940FA 18000138
	v_accvgpr_write_b32 a251, v57                              // 00000000C008: D3D940FB 18000139
	s_nop 3                                                    // 00000000C010: BF800003
	v_mfma_f32_16x16x32_fp8_fp8 v[120:123], a[250:251], v[234:235], v[120:123]// 00000000C014: D3F30078 0DE3D5FA
	v_accvgpr_read_b32 v52, a254                               // 00000000C01C: D3D84034 180001FE
	v_cvt_off_f32_i4_e32 v53, v52                              // 00000000C024: 7E6A1D34
	v_cvt_off_f32_i4_sdwa v54, v52 dst_sel:DWORD dst_unused:UNUSED_PRESERVE src0_sel:BYTE_2// 00000000C028: 7E6C1CF9 00021634
	v_cvt_pk_fp8_f32 v56, v53, v54                             // 00000000C030: D2A20038 00026D35
	v_cvt_off_f32_i4_sdwa v53, v52 dst_sel:DWORD dst_unused:UNUSED_PRESERVE src0_sel:BYTE_1// 00000000C038: 7E6A1CF9 00011634
	v_cvt_off_f32_i4_sdwa v54, v52 dst_sel:DWORD dst_unused:UNUSED_PRESERVE src0_sel:BYTE_3// 00000000C040: 7E6C1CF9 00031634
	v_cvt_pk_fp8_f32 v57, v53, v54                             // 00000000C048: D2A20039 00026D35
	v_lshrrev_b32_e32 v55, 4, v52                              // 00000000C050: 206E6884
	v_cvt_off_f32_i4_e32 v53, v55                              // 00000000C054: 7E6A1D37
	v_cvt_off_f32_i4_sdwa v54, v55 dst_sel:DWORD dst_unused:UNUSED_PRESERVE src0_sel:BYTE_2// 00000000C058: 7E6C1CF9 00021637
	v_cvt_pk_fp8_f32 v56, v53, v54 op_sel:[0,0,1]              // 00000000C060: D2A24038 00026D35
	v_cvt_off_f32_i4_sdwa v53, v55 dst_sel:DWORD dst_unused:UNUSED_PRESERVE src0_sel:BYTE_1// 00000000C068: 7E6A1CF9 00011637
	v_cvt_off_f32_i4_sdwa v54, v55 dst_sel:DWORD dst_unused:UNUSED_PRESERVE src0_sel:BYTE_3// 00000000C070: 7E6C1CF9 00031637
	v_cvt_pk_fp8_f32 v57, v53, v54 op_sel:[0,0,1]              // 00000000C078: D2A24039 00026D35
	v_accvgpr_write_b32 a252, v56                              // 00000000C080: D3D940FC 18000138
	v_accvgpr_write_b32 a253, v57                              // 00000000C088: D3D940FD 18000139
	s_nop 3                                                    // 00000000C090: BF800003
	v_mfma_f32_16x16x32_fp8_fp8 v[120:123], a[252:253], v[236:237], v[120:123]// 00000000C094: D3F30078 0DE3D9FC
	v_accvgpr_read_b32 v52, a255                               // 00000000C09C: D3D84034 180001FF
	v_cvt_off_f32_i4_e32 v53, v52                              // 00000000C0A4: 7E6A1D34
	v_cvt_off_f32_i4_sdwa v54, v52 dst_sel:DWORD dst_unused:UNUSED_PRESERVE src0_sel:BYTE_2// 00000000C0A8: 7E6C1CF9 00021634
	v_cvt_pk_fp8_f32 v56, v53, v54                             // 00000000C0B0: D2A20038 00026D35
	v_cvt_off_f32_i4_sdwa v53, v52 dst_sel:DWORD dst_unused:UNUSED_PRESERVE src0_sel:BYTE_1// 00000000C0B8: 7E6A1CF9 00011634
	v_cvt_off_f32_i4_sdwa v54, v52 dst_sel:DWORD dst_unused:UNUSED_PRESERVE src0_sel:BYTE_3// 00000000C0C0: 7E6C1CF9 00031634
	v_cvt_pk_fp8_f32 v57, v53, v54                             // 00000000C0C8: D2A20039 00026D35
	v_lshrrev_b32_e32 v55, 4, v52                              // 00000000C0D0: 206E6884
	v_cvt_off_f32_i4_e32 v53, v55                              // 00000000C0D4: 7E6A1D37
	v_cvt_off_f32_i4_sdwa v54, v55 dst_sel:DWORD dst_unused:UNUSED_PRESERVE src0_sel:BYTE_2// 00000000C0D8: 7E6C1CF9 00021637
	v_cvt_pk_fp8_f32 v56, v53, v54 op_sel:[0,0,1]              // 00000000C0E0: D2A24038 00026D35
	v_cvt_off_f32_i4_sdwa v53, v55 dst_sel:DWORD dst_unused:UNUSED_PRESERVE src0_sel:BYTE_1// 00000000C0E8: 7E6A1CF9 00011637
	v_cvt_off_f32_i4_sdwa v54, v55 dst_sel:DWORD dst_unused:UNUSED_PRESERVE src0_sel:BYTE_3// 00000000C0F0: 7E6C1CF9 00031637
	v_cvt_pk_fp8_f32 v57, v53, v54 op_sel:[0,0,1]              // 00000000C0F8: D2A24039 00026D35
	v_accvgpr_write_b32 a254, v56                              // 00000000C100: D3D940FE 18000138
	v_accvgpr_write_b32 a255, v57                              // 00000000C108: D3D940FF 18000139
	s_nop 3                                                    // 00000000C110: BF800003
	v_mfma_f32_16x16x32_fp8_fp8 v[120:123], a[254:255], v[238:239], v[120:123]// 00000000C114: D3F30078 0DE3DDFE
	v_mfma_f32_16x16x32_fp8_fp8 v[124:127], a[240:241], v[240:241], v[124:127]// 00000000C11C: D3F3007C 0DF3E1F0
	v_mfma_f32_16x16x32_fp8_fp8 v[124:127], a[242:243], v[242:243], v[124:127]// 00000000C124: D3F3007C 0DF3E5F2
	buffer_load_dwordx4 a[124:127], v41, s[24:27], 0 offen offset:1024// 00000000C12C: E05C1400 80867C29
	v_mfma_f32_16x16x32_fp8_fp8 v[124:127], a[244:245], v[244:245], v[124:127]// 00000000C134: D3F3007C 0DF3E9F4
	v_mfma_f32_16x16x32_fp8_fp8 v[124:127], a[246:247], v[246:247], v[124:127]// 00000000C13C: D3F3007C 0DF3EDF6
	v_mfma_f32_16x16x32_fp8_fp8 v[124:127], a[248:249], v[248:249], v[124:127]// 00000000C144: D3F3007C 0DF3F1F8
	v_mfma_f32_16x16x32_fp8_fp8 v[124:127], a[250:251], v[250:251], v[124:127]// 00000000C14C: D3F3007C 0DF3F5FA
	v_mfma_f32_16x16x32_fp8_fp8 v[124:127], a[252:253], v[252:253], v[124:127]// 00000000C154: D3F3007C 0DF3F9FC
	v_mfma_f32_16x16x32_fp8_fp8 v[124:127], a[254:255], v[254:255], v[124:127]// 00000000C15C: D3F3007C 0DF3FDFE
	s_add_u32 s60, 0x200, s80                                  // 00000000C164: 803C50FF 00000200
	s_cmp_lt_u32 s60, s81                                      // 00000000C16C: BF0A513C
	s_cselect_b32 s57, s57, 0                                  // 00000000C170: 85398039
	s_add_u32 s60, 0x200, s80                                  // 00000000C174: 803C50FF 00000200
	s_cmp_lt_u32 s60, s81                                      // 00000000C17C: BF0A513C
	s_cselect_b32 s58, s58, 0                                  // 00000000C180: 853A803A
	s_add_u32 s20, s57, s20                                    // 00000000C184: 80141439
	s_addc_u32 s21, 0, s21                                     // 00000000C188: 82151580
	s_add_u32 s24, s58, s24                                    // 00000000C18C: 8018183A
	s_addc_u32 s25, 0, s25                                     // 00000000C190: 82191980
	s_add_u32 s92, s90, s92                                    // 00000000C194: 805C5C5A
	s_addc_u32 s93, 0, s93                                     // 00000000C198: 825D5D80
	s_addk_i32 s80, 0x100                                      // 00000000C19C: B7500100
	s_cmp_lt_i32 s80, s81                                      // 00000000C1A0: BF045150
	s_cbranch_scc0 label_25AB                                  // 00000000C1A4: BF840001
	s_branch label_028A                                        // 00000000C1A8: BF82DCDF

000000000000c1ac <label_25AB>:
	s_mov_b32 s36, -1                                          // 00000000C1AC: BEA400C1
	s_mov_b32 s37, -1                                          // 00000000C1B0: BEA500C1
	s_mov_b64 s[60:61], 0                                      // 00000000C1B4: BEBC0180
	s_cmp_lt_u32 s82, s66                                      // 00000000C1B8: BF0A4252
	s_cselect_b64 s[20:21], s[36:37], s[60:61]                 // 00000000C1BC: 85943C24
	s_cmp_lt_u32 s83, s66                                      // 00000000C1C0: BF0A4253
	s_cselect_b64 s[22:23], s[36:37], s[60:61]                 // 00000000C1C4: 85963C24
	s_cmp_lt_u32 s84, s66                                      // 00000000C1C8: BF0A4254
	s_cselect_b64 s[24:25], s[36:37], s[60:61]                 // 00000000C1CC: 85983C24
	s_cmp_lt_u32 s85, s66                                      // 00000000C1D0: BF0A4255
	s_cselect_b64 s[26:27], s[36:37], s[60:61]                 // 00000000C1D4: 859A3C24
	s_cmp_lt_u32 s86, s66                                      // 00000000C1D8: BF0A4256
	s_cselect_b64 s[28:29], s[36:37], s[60:61]                 // 00000000C1DC: 859C3C24
	s_cmp_lt_u32 s87, s66                                      // 00000000C1E0: BF0A4257
	s_cselect_b64 s[30:31], s[36:37], s[60:61]                 // 00000000C1E4: 859E3C24
	s_cmp_lt_u32 s88, s66                                      // 00000000C1E8: BF0A4258
	s_cselect_b64 s[32:33], s[36:37], s[60:61]                 // 00000000C1EC: 85A03C24
	s_cmp_lt_u32 s89, s66                                      // 00000000C1F0: BF0A4259
	s_cselect_b64 s[34:35], s[36:37], s[60:61]                 // 00000000C1F4: 85A23C24
	v_mul_f32_e32 v128, v14, v128                              // 00000000C1F8: 0B01010E
	v_mul_f32_e32 v128, 0x41800000, v128                       // 00000000C1FC: 0B0100FF 41800000
	v_mul_f32_e32 v129, v14, v129                              // 00000000C204: 0B03030E
	v_mul_f32_e32 v129, 0x41800000, v129                       // 00000000C208: 0B0302FF 41800000
	v_mul_f32_e32 v130, v14, v130                              // 00000000C210: 0B05050E
	v_mul_f32_e32 v130, 0x41800000, v130                       // 00000000C214: 0B0504FF 41800000
	v_mul_f32_e32 v131, v14, v131                              // 00000000C21C: 0B07070E
	v_mul_f32_e32 v131, 0x41800000, v131                       // 00000000C220: 0B0706FF 41800000
	v_mul_f32_dpp v128, v16, v128 row_newbcast:0 row_mask:0xf bank_mask:0xf// 00000000C228: 0B0100FA FF015010
	v_mul_f32_dpp v129, v16, v129 row_newbcast:1 row_mask:0xf bank_mask:0xf// 00000000C230: 0B0302FA FF015110
	v_mul_f32_dpp v130, v16, v130 row_newbcast:2 row_mask:0xf bank_mask:0xf// 00000000C238: 0B0504FA FF015210
	v_mul_f32_dpp v131, v16, v131 row_newbcast:3 row_mask:0xf bank_mask:0xf// 00000000C240: 0B0706FA FF015310
	v_mul_f32_e32 v132, v15, v132                              // 00000000C248: 0B09090F
	v_mul_f32_e32 v132, 0x41800000, v132                       // 00000000C24C: 0B0908FF 41800000
	v_mul_f32_e32 v133, v15, v133                              // 00000000C254: 0B0B0B0F
	v_mul_f32_e32 v133, 0x41800000, v133                       // 00000000C258: 0B0B0AFF 41800000
	v_mul_f32_e32 v134, v15, v134                              // 00000000C260: 0B0D0D0F
	v_mul_f32_e32 v134, 0x41800000, v134                       // 00000000C264: 0B0D0CFF 41800000
	v_mul_f32_e32 v135, v15, v135                              // 00000000C26C: 0B0F0F0F
	v_mul_f32_e32 v135, 0x41800000, v135                       // 00000000C270: 0B0F0EFF 41800000
	v_mul_f32_dpp v132, v16, v132 row_newbcast:0 row_mask:0xf bank_mask:0xf// 00000000C278: 0B0908FA FF015010
	v_mul_f32_dpp v133, v16, v133 row_newbcast:1 row_mask:0xf bank_mask:0xf// 00000000C280: 0B0B0AFA FF015110
	v_mul_f32_dpp v134, v16, v134 row_newbcast:2 row_mask:0xf bank_mask:0xf// 00000000C288: 0B0D0CFA FF015210
	v_mul_f32_dpp v135, v16, v135 row_newbcast:3 row_mask:0xf bank_mask:0xf// 00000000C290: 0B0F0EFA FF015310
	v_mul_f32_e32 v136, v14, v136                              // 00000000C298: 0B11110E
	v_mul_f32_e32 v136, 0x41800000, v136                       // 00000000C29C: 0B1110FF 41800000
	v_mul_f32_e32 v137, v14, v137                              // 00000000C2A4: 0B13130E
	v_mul_f32_e32 v137, 0x41800000, v137                       // 00000000C2A8: 0B1312FF 41800000
	v_mul_f32_e32 v138, v14, v138                              // 00000000C2B0: 0B15150E
	v_mul_f32_e32 v138, 0x41800000, v138                       // 00000000C2B4: 0B1514FF 41800000
	v_mul_f32_e32 v139, v14, v139                              // 00000000C2BC: 0B17170E
	v_mul_f32_e32 v139, 0x41800000, v139                       // 00000000C2C0: 0B1716FF 41800000
	v_mul_f32_dpp v136, v16, v136 row_newbcast:4 row_mask:0xf bank_mask:0xf// 00000000C2C8: 0B1110FA FF015410
	v_mul_f32_dpp v137, v16, v137 row_newbcast:5 row_mask:0xf bank_mask:0xf// 00000000C2D0: 0B1312FA FF015510
	v_mul_f32_dpp v138, v16, v138 row_newbcast:6 row_mask:0xf bank_mask:0xf// 00000000C2D8: 0B1514FA FF015610
	v_mul_f32_dpp v139, v16, v139 row_newbcast:7 row_mask:0xf bank_mask:0xf// 00000000C2E0: 0B1716FA FF015710
	v_mul_f32_e32 v140, v15, v140                              // 00000000C2E8: 0B19190F
	v_mul_f32_e32 v140, 0x41800000, v140                       // 00000000C2EC: 0B1918FF 41800000
	v_mul_f32_e32 v141, v15, v141                              // 00000000C2F4: 0B1B1B0F
	v_mul_f32_e32 v141, 0x41800000, v141                       // 00000000C2F8: 0B1B1AFF 41800000
	v_mul_f32_e32 v142, v15, v142                              // 00000000C300: 0B1D1D0F
	v_mul_f32_e32 v142, 0x41800000, v142                       // 00000000C304: 0B1D1CFF 41800000
	v_mul_f32_e32 v143, v15, v143                              // 00000000C30C: 0B1F1F0F
	v_mul_f32_e32 v143, 0x41800000, v143                       // 00000000C310: 0B1F1EFF 41800000
	v_mul_f32_dpp v140, v16, v140 row_newbcast:4 row_mask:0xf bank_mask:0xf// 00000000C318: 0B1918FA FF015410
	v_mul_f32_dpp v141, v16, v141 row_newbcast:5 row_mask:0xf bank_mask:0xf// 00000000C320: 0B1B1AFA FF015510
	v_mul_f32_dpp v142, v16, v142 row_newbcast:6 row_mask:0xf bank_mask:0xf// 00000000C328: 0B1D1CFA FF015610
	v_mul_f32_dpp v143, v16, v143 row_newbcast:7 row_mask:0xf bank_mask:0xf// 00000000C330: 0B1F1EFA FF015710
	v_mul_f32_e32 v144, v14, v144                              // 00000000C338: 0B21210E
	v_mul_f32_e32 v144, 0x41800000, v144                       // 00000000C33C: 0B2120FF 41800000
	v_mul_f32_e32 v145, v14, v145                              // 00000000C344: 0B23230E
	v_mul_f32_e32 v145, 0x41800000, v145                       // 00000000C348: 0B2322FF 41800000
	v_mul_f32_e32 v146, v14, v146                              // 00000000C350: 0B25250E
	v_mul_f32_e32 v146, 0x41800000, v146                       // 00000000C354: 0B2524FF 41800000
	v_mul_f32_e32 v147, v14, v147                              // 00000000C35C: 0B27270E
	v_mul_f32_e32 v147, 0x41800000, v147                       // 00000000C360: 0B2726FF 41800000
	v_mul_f32_dpp v144, v16, v144 row_newbcast:8 row_mask:0xf bank_mask:0xf// 00000000C368: 0B2120FA FF015810
	v_mul_f32_dpp v145, v16, v145 row_newbcast:9 row_mask:0xf bank_mask:0xf// 00000000C370: 0B2322FA FF015910
	v_mul_f32_dpp v146, v16, v146 row_newbcast:10 row_mask:0xf bank_mask:0xf// 00000000C378: 0B2524FA FF015A10
	v_mul_f32_dpp v147, v16, v147 row_newbcast:11 row_mask:0xf bank_mask:0xf// 00000000C380: 0B2726FA FF015B10
	v_mul_f32_e32 v148, v15, v148                              // 00000000C388: 0B29290F
	v_mul_f32_e32 v148, 0x41800000, v148                       // 00000000C38C: 0B2928FF 41800000
	v_mul_f32_e32 v149, v15, v149                              // 00000000C394: 0B2B2B0F
	v_mul_f32_e32 v149, 0x41800000, v149                       // 00000000C398: 0B2B2AFF 41800000
	v_mul_f32_e32 v150, v15, v150                              // 00000000C3A0: 0B2D2D0F
	v_mul_f32_e32 v150, 0x41800000, v150                       // 00000000C3A4: 0B2D2CFF 41800000
	v_mul_f32_e32 v151, v15, v151                              // 00000000C3AC: 0B2F2F0F
	v_mul_f32_e32 v151, 0x41800000, v151                       // 00000000C3B0: 0B2F2EFF 41800000
	v_mul_f32_dpp v148, v16, v148 row_newbcast:8 row_mask:0xf bank_mask:0xf// 00000000C3B8: 0B2928FA FF015810
	v_mul_f32_dpp v149, v16, v149 row_newbcast:9 row_mask:0xf bank_mask:0xf// 00000000C3C0: 0B2B2AFA FF015910
	v_mul_f32_dpp v150, v16, v150 row_newbcast:10 row_mask:0xf bank_mask:0xf// 00000000C3C8: 0B2D2CFA FF015A10
	v_mul_f32_dpp v151, v16, v151 row_newbcast:11 row_mask:0xf bank_mask:0xf// 00000000C3D0: 0B2F2EFA FF015B10
	v_mul_f32_e32 v152, v14, v152                              // 00000000C3D8: 0B31310E
	v_mul_f32_e32 v152, 0x41800000, v152                       // 00000000C3DC: 0B3130FF 41800000
	v_mul_f32_e32 v153, v14, v153                              // 00000000C3E4: 0B33330E
	v_mul_f32_e32 v153, 0x41800000, v153                       // 00000000C3E8: 0B3332FF 41800000
	v_mul_f32_e32 v154, v14, v154                              // 00000000C3F0: 0B35350E
	v_mul_f32_e32 v154, 0x41800000, v154                       // 00000000C3F4: 0B3534FF 41800000
	v_mul_f32_e32 v155, v14, v155                              // 00000000C3FC: 0B37370E
	v_mul_f32_e32 v155, 0x41800000, v155                       // 00000000C400: 0B3736FF 41800000
	v_mul_f32_dpp v152, v16, v152 row_newbcast:12 row_mask:0xf bank_mask:0xf// 00000000C408: 0B3130FA FF015C10
	v_mul_f32_dpp v153, v16, v153 row_newbcast:13 row_mask:0xf bank_mask:0xf// 00000000C410: 0B3332FA FF015D10
	v_mul_f32_dpp v154, v16, v154 row_newbcast:14 row_mask:0xf bank_mask:0xf// 00000000C418: 0B3534FA FF015E10
	v_mul_f32_dpp v155, v16, v155 row_newbcast:15 row_mask:0xf bank_mask:0xf// 00000000C420: 0B3736FA FF015F10
	v_mul_f32_e32 v156, v15, v156                              // 00000000C428: 0B39390F
	v_mul_f32_e32 v156, 0x41800000, v156                       // 00000000C42C: 0B3938FF 41800000
	v_mul_f32_e32 v157, v15, v157                              // 00000000C434: 0B3B3B0F
	v_mul_f32_e32 v157, 0x41800000, v157                       // 00000000C438: 0B3B3AFF 41800000
	v_mul_f32_e32 v158, v15, v158                              // 00000000C440: 0B3D3D0F
	v_mul_f32_e32 v158, 0x41800000, v158                       // 00000000C444: 0B3D3CFF 41800000
	v_mul_f32_e32 v159, v15, v159                              // 00000000C44C: 0B3F3F0F
	v_mul_f32_e32 v159, 0x41800000, v159                       // 00000000C450: 0B3F3EFF 41800000
	v_mul_f32_dpp v156, v16, v156 row_newbcast:12 row_mask:0xf bank_mask:0xf// 00000000C458: 0B3938FA FF015C10
	v_mul_f32_dpp v157, v16, v157 row_newbcast:13 row_mask:0xf bank_mask:0xf// 00000000C460: 0B3B3AFA FF015D10
	v_mul_f32_dpp v158, v16, v158 row_newbcast:14 row_mask:0xf bank_mask:0xf// 00000000C468: 0B3D3CFA FF015E10
	v_mul_f32_dpp v159, v16, v159 row_newbcast:15 row_mask:0xf bank_mask:0xf// 00000000C470: 0B3F3EFA FF015F10
	v_mul_f32_e32 v160, v14, v160                              // 00000000C478: 0B41410E
	v_mul_f32_e32 v160, 0x41800000, v160                       // 00000000C47C: 0B4140FF 41800000
	v_mul_f32_e32 v161, v14, v161                              // 00000000C484: 0B43430E
	v_mul_f32_e32 v161, 0x41800000, v161                       // 00000000C488: 0B4342FF 41800000
	v_mul_f32_e32 v162, v14, v162                              // 00000000C490: 0B45450E
	v_mul_f32_e32 v162, 0x41800000, v162                       // 00000000C494: 0B4544FF 41800000
	v_mul_f32_e32 v163, v14, v163                              // 00000000C49C: 0B47470E
	v_mul_f32_e32 v163, 0x41800000, v163                       // 00000000C4A0: 0B4746FF 41800000
	v_mul_f32_dpp v160, v17, v160 row_newbcast:0 row_mask:0xf bank_mask:0xf// 00000000C4A8: 0B4140FA FF015011
	v_mul_f32_dpp v161, v17, v161 row_newbcast:1 row_mask:0xf bank_mask:0xf// 00000000C4B0: 0B4342FA FF015111
	v_mul_f32_dpp v162, v17, v162 row_newbcast:2 row_mask:0xf bank_mask:0xf// 00000000C4B8: 0B4544FA FF015211
	v_mul_f32_dpp v163, v17, v163 row_newbcast:3 row_mask:0xf bank_mask:0xf// 00000000C4C0: 0B4746FA FF015311
	v_mul_f32_e32 v164, v15, v164                              // 00000000C4C8: 0B49490F
	v_mul_f32_e32 v164, 0x41800000, v164                       // 00000000C4CC: 0B4948FF 41800000
	v_mul_f32_e32 v165, v15, v165                              // 00000000C4D4: 0B4B4B0F
	v_mul_f32_e32 v165, 0x41800000, v165                       // 00000000C4D8: 0B4B4AFF 41800000
	v_mul_f32_e32 v166, v15, v166                              // 00000000C4E0: 0B4D4D0F
	v_mul_f32_e32 v166, 0x41800000, v166                       // 00000000C4E4: 0B4D4CFF 41800000
	v_mul_f32_e32 v167, v15, v167                              // 00000000C4EC: 0B4F4F0F
	v_mul_f32_e32 v167, 0x41800000, v167                       // 00000000C4F0: 0B4F4EFF 41800000
	v_mul_f32_dpp v164, v17, v164 row_newbcast:0 row_mask:0xf bank_mask:0xf// 00000000C4F8: 0B4948FA FF015011
	v_mul_f32_dpp v165, v17, v165 row_newbcast:1 row_mask:0xf bank_mask:0xf// 00000000C500: 0B4B4AFA FF015111
	v_mul_f32_dpp v166, v17, v166 row_newbcast:2 row_mask:0xf bank_mask:0xf// 00000000C508: 0B4D4CFA FF015211
	v_mul_f32_dpp v167, v17, v167 row_newbcast:3 row_mask:0xf bank_mask:0xf// 00000000C510: 0B4F4EFA FF015311
	v_mul_f32_e32 v168, v14, v168                              // 00000000C518: 0B51510E
	v_mul_f32_e32 v168, 0x41800000, v168                       // 00000000C51C: 0B5150FF 41800000
	v_mul_f32_e32 v169, v14, v169                              // 00000000C524: 0B53530E
	v_mul_f32_e32 v169, 0x41800000, v169                       // 00000000C528: 0B5352FF 41800000
	v_mul_f32_e32 v170, v14, v170                              // 00000000C530: 0B55550E
	v_mul_f32_e32 v170, 0x41800000, v170                       // 00000000C534: 0B5554FF 41800000
	v_mul_f32_e32 v171, v14, v171                              // 00000000C53C: 0B57570E
	v_mul_f32_e32 v171, 0x41800000, v171                       // 00000000C540: 0B5756FF 41800000
	v_mul_f32_dpp v168, v17, v168 row_newbcast:4 row_mask:0xf bank_mask:0xf// 00000000C548: 0B5150FA FF015411
	v_mul_f32_dpp v169, v17, v169 row_newbcast:5 row_mask:0xf bank_mask:0xf// 00000000C550: 0B5352FA FF015511
	v_mul_f32_dpp v170, v17, v170 row_newbcast:6 row_mask:0xf bank_mask:0xf// 00000000C558: 0B5554FA FF015611
	v_mul_f32_dpp v171, v17, v171 row_newbcast:7 row_mask:0xf bank_mask:0xf// 00000000C560: 0B5756FA FF015711
	v_mul_f32_e32 v172, v15, v172                              // 00000000C568: 0B59590F
	v_mul_f32_e32 v172, 0x41800000, v172                       // 00000000C56C: 0B5958FF 41800000
	v_mul_f32_e32 v173, v15, v173                              // 00000000C574: 0B5B5B0F
	v_mul_f32_e32 v173, 0x41800000, v173                       // 00000000C578: 0B5B5AFF 41800000
	v_mul_f32_e32 v174, v15, v174                              // 00000000C580: 0B5D5D0F
	v_mul_f32_e32 v174, 0x41800000, v174                       // 00000000C584: 0B5D5CFF 41800000
	v_mul_f32_e32 v175, v15, v175                              // 00000000C58C: 0B5F5F0F
	v_mul_f32_e32 v175, 0x41800000, v175                       // 00000000C590: 0B5F5EFF 41800000
	v_mul_f32_dpp v172, v17, v172 row_newbcast:4 row_mask:0xf bank_mask:0xf// 00000000C598: 0B5958FA FF015411
	v_mul_f32_dpp v173, v17, v173 row_newbcast:5 row_mask:0xf bank_mask:0xf// 00000000C5A0: 0B5B5AFA FF015511
	v_mul_f32_dpp v174, v17, v174 row_newbcast:6 row_mask:0xf bank_mask:0xf// 00000000C5A8: 0B5D5CFA FF015611
	v_mul_f32_dpp v175, v17, v175 row_newbcast:7 row_mask:0xf bank_mask:0xf// 00000000C5B0: 0B5F5EFA FF015711
	v_mul_f32_e32 v176, v14, v176                              // 00000000C5B8: 0B61610E
	v_mul_f32_e32 v176, 0x41800000, v176                       // 00000000C5BC: 0B6160FF 41800000
	v_mul_f32_e32 v177, v14, v177                              // 00000000C5C4: 0B63630E
	v_mul_f32_e32 v177, 0x41800000, v177                       // 00000000C5C8: 0B6362FF 41800000
	v_mul_f32_e32 v178, v14, v178                              // 00000000C5D0: 0B65650E
	v_mul_f32_e32 v178, 0x41800000, v178                       // 00000000C5D4: 0B6564FF 41800000
	v_mul_f32_e32 v179, v14, v179                              // 00000000C5DC: 0B67670E
	v_mul_f32_e32 v179, 0x41800000, v179                       // 00000000C5E0: 0B6766FF 41800000
	v_mul_f32_dpp v176, v17, v176 row_newbcast:8 row_mask:0xf bank_mask:0xf// 00000000C5E8: 0B6160FA FF015811
	v_mul_f32_dpp v177, v17, v177 row_newbcast:9 row_mask:0xf bank_mask:0xf// 00000000C5F0: 0B6362FA FF015911
	v_mul_f32_dpp v178, v17, v178 row_newbcast:10 row_mask:0xf bank_mask:0xf// 00000000C5F8: 0B6564FA FF015A11
	v_mul_f32_dpp v179, v17, v179 row_newbcast:11 row_mask:0xf bank_mask:0xf// 00000000C600: 0B6766FA FF015B11
	v_mul_f32_e32 v180, v15, v180                              // 00000000C608: 0B69690F
	v_mul_f32_e32 v180, 0x41800000, v180                       // 00000000C60C: 0B6968FF 41800000
	v_mul_f32_e32 v181, v15, v181                              // 00000000C614: 0B6B6B0F
	v_mul_f32_e32 v181, 0x41800000, v181                       // 00000000C618: 0B6B6AFF 41800000
	v_mul_f32_e32 v182, v15, v182                              // 00000000C620: 0B6D6D0F
	v_mul_f32_e32 v182, 0x41800000, v182                       // 00000000C624: 0B6D6CFF 41800000
	v_mul_f32_e32 v183, v15, v183                              // 00000000C62C: 0B6F6F0F
	v_mul_f32_e32 v183, 0x41800000, v183                       // 00000000C630: 0B6F6EFF 41800000
	v_mul_f32_dpp v180, v17, v180 row_newbcast:8 row_mask:0xf bank_mask:0xf// 00000000C638: 0B6968FA FF015811
	v_mul_f32_dpp v181, v17, v181 row_newbcast:9 row_mask:0xf bank_mask:0xf// 00000000C640: 0B6B6AFA FF015911
	v_mul_f32_dpp v182, v17, v182 row_newbcast:10 row_mask:0xf bank_mask:0xf// 00000000C648: 0B6D6CFA FF015A11
	v_mul_f32_dpp v183, v17, v183 row_newbcast:11 row_mask:0xf bank_mask:0xf// 00000000C650: 0B6F6EFA FF015B11
	v_mul_f32_e32 v184, v14, v184                              // 00000000C658: 0B71710E
	v_mul_f32_e32 v184, 0x41800000, v184                       // 00000000C65C: 0B7170FF 41800000
	v_mul_f32_e32 v185, v14, v185                              // 00000000C664: 0B73730E
	v_mul_f32_e32 v185, 0x41800000, v185                       // 00000000C668: 0B7372FF 41800000
	v_mul_f32_e32 v186, v14, v186                              // 00000000C670: 0B75750E
	v_mul_f32_e32 v186, 0x41800000, v186                       // 00000000C674: 0B7574FF 41800000
	v_mul_f32_e32 v187, v14, v187                              // 00000000C67C: 0B77770E
	v_mul_f32_e32 v187, 0x41800000, v187                       // 00000000C680: 0B7776FF 41800000
	v_mul_f32_dpp v184, v17, v184 row_newbcast:12 row_mask:0xf bank_mask:0xf// 00000000C688: 0B7170FA FF015C11
	v_mul_f32_dpp v185, v17, v185 row_newbcast:13 row_mask:0xf bank_mask:0xf// 00000000C690: 0B7372FA FF015D11
	v_mul_f32_dpp v186, v17, v186 row_newbcast:14 row_mask:0xf bank_mask:0xf// 00000000C698: 0B7574FA FF015E11
	v_mul_f32_dpp v187, v17, v187 row_newbcast:15 row_mask:0xf bank_mask:0xf// 00000000C6A0: 0B7776FA FF015F11
	v_mul_f32_e32 v188, v15, v188                              // 00000000C6A8: 0B79790F
	v_mul_f32_e32 v188, 0x41800000, v188                       // 00000000C6AC: 0B7978FF 41800000
	v_mul_f32_e32 v189, v15, v189                              // 00000000C6B4: 0B7B7B0F
	v_mul_f32_e32 v189, 0x41800000, v189                       // 00000000C6B8: 0B7B7AFF 41800000
	v_mul_f32_e32 v190, v15, v190                              // 00000000C6C0: 0B7D7D0F
	v_mul_f32_e32 v190, 0x41800000, v190                       // 00000000C6C4: 0B7D7CFF 41800000
	v_mul_f32_e32 v191, v15, v191                              // 00000000C6CC: 0B7F7F0F
	v_mul_f32_e32 v191, 0x41800000, v191                       // 00000000C6D0: 0B7F7EFF 41800000
	v_mul_f32_dpp v188, v17, v188 row_newbcast:12 row_mask:0xf bank_mask:0xf// 00000000C6D8: 0B7978FA FF015C11
	v_mul_f32_dpp v189, v17, v189 row_newbcast:13 row_mask:0xf bank_mask:0xf// 00000000C6E0: 0B7B7AFA FF015D11
	v_mul_f32_dpp v190, v17, v190 row_newbcast:14 row_mask:0xf bank_mask:0xf// 00000000C6E8: 0B7D7CFA FF015E11
	v_mul_f32_dpp v191, v17, v191 row_newbcast:15 row_mask:0xf bank_mask:0xf// 00000000C6F0: 0B7F7EFA FF015F11
	v_mul_f32_e32 v64, v14, v64                                // 00000000C6F8: 0A80810E
	v_mul_f32_e32 v64, 0x41800000, v64                         // 00000000C6FC: 0A8080FF 41800000
	v_mul_f32_e32 v65, v14, v65                                // 00000000C704: 0A82830E
	v_mul_f32_e32 v65, 0x41800000, v65                         // 00000000C708: 0A8282FF 41800000
	v_mul_f32_e32 v66, v14, v66                                // 00000000C710: 0A84850E
	v_mul_f32_e32 v66, 0x41800000, v66                         // 00000000C714: 0A8484FF 41800000
	v_mul_f32_e32 v67, v14, v67                                // 00000000C71C: 0A86870E
	v_mul_f32_e32 v67, 0x41800000, v67                         // 00000000C720: 0A8686FF 41800000
	v_mul_f32_dpp v64, v50, v64 row_newbcast:0 row_mask:0xf bank_mask:0xf// 00000000C728: 0A8080FA FF015032
	v_mul_f32_dpp v65, v50, v65 row_newbcast:1 row_mask:0xf bank_mask:0xf// 00000000C730: 0A8282FA FF015132
	v_mul_f32_dpp v66, v50, v66 row_newbcast:2 row_mask:0xf bank_mask:0xf// 00000000C738: 0A8484FA FF015232
	v_mul_f32_dpp v67, v50, v67 row_newbcast:3 row_mask:0xf bank_mask:0xf// 00000000C740: 0A8686FA FF015332
	v_mul_f32_e32 v68, v15, v68                                // 00000000C748: 0A88890F
	v_mul_f32_e32 v68, 0x41800000, v68                         // 00000000C74C: 0A8888FF 41800000
	v_mul_f32_e32 v69, v15, v69                                // 00000000C754: 0A8A8B0F
	v_mul_f32_e32 v69, 0x41800000, v69                         // 00000000C758: 0A8A8AFF 41800000
	v_mul_f32_e32 v70, v15, v70                                // 00000000C760: 0A8C8D0F
	v_mul_f32_e32 v70, 0x41800000, v70                         // 00000000C764: 0A8C8CFF 41800000
	v_mul_f32_e32 v71, v15, v71                                // 00000000C76C: 0A8E8F0F
	v_mul_f32_e32 v71, 0x41800000, v71                         // 00000000C770: 0A8E8EFF 41800000
	v_mul_f32_dpp v68, v50, v68 row_newbcast:0 row_mask:0xf bank_mask:0xf// 00000000C778: 0A8888FA FF015032
	v_mul_f32_dpp v69, v50, v69 row_newbcast:1 row_mask:0xf bank_mask:0xf// 00000000C780: 0A8A8AFA FF015132
	v_mul_f32_dpp v70, v50, v70 row_newbcast:2 row_mask:0xf bank_mask:0xf// 00000000C788: 0A8C8CFA FF015232
	v_mul_f32_dpp v71, v50, v71 row_newbcast:3 row_mask:0xf bank_mask:0xf// 00000000C790: 0A8E8EFA FF015332
	v_mul_f32_e32 v72, v14, v72                                // 00000000C798: 0A90910E
	v_mul_f32_e32 v72, 0x41800000, v72                         // 00000000C79C: 0A9090FF 41800000
	v_mul_f32_e32 v73, v14, v73                                // 00000000C7A4: 0A92930E
	v_mul_f32_e32 v73, 0x41800000, v73                         // 00000000C7A8: 0A9292FF 41800000
	v_mul_f32_e32 v74, v14, v74                                // 00000000C7B0: 0A94950E
	v_mul_f32_e32 v74, 0x41800000, v74                         // 00000000C7B4: 0A9494FF 41800000
	v_mul_f32_e32 v75, v14, v75                                // 00000000C7BC: 0A96970E
	v_mul_f32_e32 v75, 0x41800000, v75                         // 00000000C7C0: 0A9696FF 41800000
	v_mul_f32_dpp v72, v50, v72 row_newbcast:4 row_mask:0xf bank_mask:0xf// 00000000C7C8: 0A9090FA FF015432
	v_mul_f32_dpp v73, v50, v73 row_newbcast:5 row_mask:0xf bank_mask:0xf// 00000000C7D0: 0A9292FA FF015532
	v_mul_f32_dpp v74, v50, v74 row_newbcast:6 row_mask:0xf bank_mask:0xf// 00000000C7D8: 0A9494FA FF015632
	v_mul_f32_dpp v75, v50, v75 row_newbcast:7 row_mask:0xf bank_mask:0xf// 00000000C7E0: 0A9696FA FF015732
	v_mul_f32_e32 v76, v15, v76                                // 00000000C7E8: 0A98990F
	v_mul_f32_e32 v76, 0x41800000, v76                         // 00000000C7EC: 0A9898FF 41800000
	v_mul_f32_e32 v77, v15, v77                                // 00000000C7F4: 0A9A9B0F
	v_mul_f32_e32 v77, 0x41800000, v77                         // 00000000C7F8: 0A9A9AFF 41800000
	v_mul_f32_e32 v78, v15, v78                                // 00000000C800: 0A9C9D0F
	v_mul_f32_e32 v78, 0x41800000, v78                         // 00000000C804: 0A9C9CFF 41800000
	v_mul_f32_e32 v79, v15, v79                                // 00000000C80C: 0A9E9F0F
	v_mul_f32_e32 v79, 0x41800000, v79                         // 00000000C810: 0A9E9EFF 41800000
	v_mul_f32_dpp v76, v50, v76 row_newbcast:4 row_mask:0xf bank_mask:0xf// 00000000C818: 0A9898FA FF015432
	v_mul_f32_dpp v77, v50, v77 row_newbcast:5 row_mask:0xf bank_mask:0xf// 00000000C820: 0A9A9AFA FF015532
	v_mul_f32_dpp v78, v50, v78 row_newbcast:6 row_mask:0xf bank_mask:0xf// 00000000C828: 0A9C9CFA FF015632
	v_mul_f32_dpp v79, v50, v79 row_newbcast:7 row_mask:0xf bank_mask:0xf// 00000000C830: 0A9E9EFA FF015732
	v_mul_f32_e32 v80, v14, v80                                // 00000000C838: 0AA0A10E
	v_mul_f32_e32 v80, 0x41800000, v80                         // 00000000C83C: 0AA0A0FF 41800000
	v_mul_f32_e32 v81, v14, v81                                // 00000000C844: 0AA2A30E
	v_mul_f32_e32 v81, 0x41800000, v81                         // 00000000C848: 0AA2A2FF 41800000
	v_mul_f32_e32 v82, v14, v82                                // 00000000C850: 0AA4A50E
	v_mul_f32_e32 v82, 0x41800000, v82                         // 00000000C854: 0AA4A4FF 41800000
	v_mul_f32_e32 v83, v14, v83                                // 00000000C85C: 0AA6A70E
	v_mul_f32_e32 v83, 0x41800000, v83                         // 00000000C860: 0AA6A6FF 41800000
	v_mul_f32_dpp v80, v50, v80 row_newbcast:8 row_mask:0xf bank_mask:0xf// 00000000C868: 0AA0A0FA FF015832
	v_mul_f32_dpp v81, v50, v81 row_newbcast:9 row_mask:0xf bank_mask:0xf// 00000000C870: 0AA2A2FA FF015932
	v_mul_f32_dpp v82, v50, v82 row_newbcast:10 row_mask:0xf bank_mask:0xf// 00000000C878: 0AA4A4FA FF015A32
	v_mul_f32_dpp v83, v50, v83 row_newbcast:11 row_mask:0xf bank_mask:0xf// 00000000C880: 0AA6A6FA FF015B32
	v_mul_f32_e32 v84, v15, v84                                // 00000000C888: 0AA8A90F
	v_mul_f32_e32 v84, 0x41800000, v84                         // 00000000C88C: 0AA8A8FF 41800000
	v_mul_f32_e32 v85, v15, v85                                // 00000000C894: 0AAAAB0F
	v_mul_f32_e32 v85, 0x41800000, v85                         // 00000000C898: 0AAAAAFF 41800000
	v_mul_f32_e32 v86, v15, v86                                // 00000000C8A0: 0AACAD0F
	v_mul_f32_e32 v86, 0x41800000, v86                         // 00000000C8A4: 0AACACFF 41800000
	v_mul_f32_e32 v87, v15, v87                                // 00000000C8AC: 0AAEAF0F
	v_mul_f32_e32 v87, 0x41800000, v87                         // 00000000C8B0: 0AAEAEFF 41800000
	v_mul_f32_dpp v84, v50, v84 row_newbcast:8 row_mask:0xf bank_mask:0xf// 00000000C8B8: 0AA8A8FA FF015832
	v_mul_f32_dpp v85, v50, v85 row_newbcast:9 row_mask:0xf bank_mask:0xf// 00000000C8C0: 0AAAAAFA FF015932
	v_mul_f32_dpp v86, v50, v86 row_newbcast:10 row_mask:0xf bank_mask:0xf// 00000000C8C8: 0AACACFA FF015A32
	v_mul_f32_dpp v87, v50, v87 row_newbcast:11 row_mask:0xf bank_mask:0xf// 00000000C8D0: 0AAEAEFA FF015B32
	v_mul_f32_e32 v88, v14, v88                                // 00000000C8D8: 0AB0B10E
	v_mul_f32_e32 v88, 0x41800000, v88                         // 00000000C8DC: 0AB0B0FF 41800000
	v_mul_f32_e32 v89, v14, v89                                // 00000000C8E4: 0AB2B30E
	v_mul_f32_e32 v89, 0x41800000, v89                         // 00000000C8E8: 0AB2B2FF 41800000
	v_mul_f32_e32 v90, v14, v90                                // 00000000C8F0: 0AB4B50E
	v_mul_f32_e32 v90, 0x41800000, v90                         // 00000000C8F4: 0AB4B4FF 41800000
	v_mul_f32_e32 v91, v14, v91                                // 00000000C8FC: 0AB6B70E
	v_mul_f32_e32 v91, 0x41800000, v91                         // 00000000C900: 0AB6B6FF 41800000
	v_mul_f32_dpp v88, v50, v88 row_newbcast:12 row_mask:0xf bank_mask:0xf// 00000000C908: 0AB0B0FA FF015C32
	v_mul_f32_dpp v89, v50, v89 row_newbcast:13 row_mask:0xf bank_mask:0xf// 00000000C910: 0AB2B2FA FF015D32
	v_mul_f32_dpp v90, v50, v90 row_newbcast:14 row_mask:0xf bank_mask:0xf// 00000000C918: 0AB4B4FA FF015E32
	v_mul_f32_dpp v91, v50, v91 row_newbcast:15 row_mask:0xf bank_mask:0xf// 00000000C920: 0AB6B6FA FF015F32
	v_mul_f32_e32 v92, v15, v92                                // 00000000C928: 0AB8B90F
	v_mul_f32_e32 v92, 0x41800000, v92                         // 00000000C92C: 0AB8B8FF 41800000
	v_mul_f32_e32 v93, v15, v93                                // 00000000C934: 0ABABB0F
	v_mul_f32_e32 v93, 0x41800000, v93                         // 00000000C938: 0ABABAFF 41800000
	v_mul_f32_e32 v94, v15, v94                                // 00000000C940: 0ABCBD0F
	v_mul_f32_e32 v94, 0x41800000, v94                         // 00000000C944: 0ABCBCFF 41800000
	v_mul_f32_e32 v95, v15, v95                                // 00000000C94C: 0ABEBF0F
	v_mul_f32_e32 v95, 0x41800000, v95                         // 00000000C950: 0ABEBEFF 41800000
	v_mul_f32_dpp v92, v50, v92 row_newbcast:12 row_mask:0xf bank_mask:0xf// 00000000C958: 0AB8B8FA FF015C32
	v_mul_f32_dpp v93, v50, v93 row_newbcast:13 row_mask:0xf bank_mask:0xf// 00000000C960: 0ABABAFA FF015D32
	v_mul_f32_dpp v94, v50, v94 row_newbcast:14 row_mask:0xf bank_mask:0xf// 00000000C968: 0ABCBCFA FF015E32
	v_mul_f32_dpp v95, v50, v95 row_newbcast:15 row_mask:0xf bank_mask:0xf// 00000000C970: 0ABEBEFA FF015F32
	v_mul_f32_e32 v96, v14, v96                                // 00000000C978: 0AC0C10E
	v_mul_f32_e32 v96, 0x41800000, v96                         // 00000000C97C: 0AC0C0FF 41800000
	v_mul_f32_e32 v97, v14, v97                                // 00000000C984: 0AC2C30E
	v_mul_f32_e32 v97, 0x41800000, v97                         // 00000000C988: 0AC2C2FF 41800000
	v_mul_f32_e32 v98, v14, v98                                // 00000000C990: 0AC4C50E
	v_mul_f32_e32 v98, 0x41800000, v98                         // 00000000C994: 0AC4C4FF 41800000
	v_mul_f32_e32 v99, v14, v99                                // 00000000C99C: 0AC6C70E
	v_mul_f32_e32 v99, 0x41800000, v99                         // 00000000C9A0: 0AC6C6FF 41800000
	v_mul_f32_dpp v96, v51, v96 row_newbcast:0 row_mask:0xf bank_mask:0xf// 00000000C9A8: 0AC0C0FA FF015033
	v_mul_f32_dpp v97, v51, v97 row_newbcast:1 row_mask:0xf bank_mask:0xf// 00000000C9B0: 0AC2C2FA FF015133
	v_mul_f32_dpp v98, v51, v98 row_newbcast:2 row_mask:0xf bank_mask:0xf// 00000000C9B8: 0AC4C4FA FF015233
	v_mul_f32_dpp v99, v51, v99 row_newbcast:3 row_mask:0xf bank_mask:0xf// 00000000C9C0: 0AC6C6FA FF015333
	v_mul_f32_e32 v100, v15, v100                              // 00000000C9C8: 0AC8C90F
	v_mul_f32_e32 v100, 0x41800000, v100                       // 00000000C9CC: 0AC8C8FF 41800000
	v_mul_f32_e32 v101, v15, v101                              // 00000000C9D4: 0ACACB0F
	v_mul_f32_e32 v101, 0x41800000, v101                       // 00000000C9D8: 0ACACAFF 41800000
	v_mul_f32_e32 v102, v15, v102                              // 00000000C9E0: 0ACCCD0F
	v_mul_f32_e32 v102, 0x41800000, v102                       // 00000000C9E4: 0ACCCCFF 41800000
	v_mul_f32_e32 v103, v15, v103                              // 00000000C9EC: 0ACECF0F
	v_mul_f32_e32 v103, 0x41800000, v103                       // 00000000C9F0: 0ACECEFF 41800000
	v_mul_f32_dpp v100, v51, v100 row_newbcast:0 row_mask:0xf bank_mask:0xf// 00000000C9F8: 0AC8C8FA FF015033
	v_mul_f32_dpp v101, v51, v101 row_newbcast:1 row_mask:0xf bank_mask:0xf// 00000000CA00: 0ACACAFA FF015133
	v_mul_f32_dpp v102, v51, v102 row_newbcast:2 row_mask:0xf bank_mask:0xf// 00000000CA08: 0ACCCCFA FF015233
	v_mul_f32_dpp v103, v51, v103 row_newbcast:3 row_mask:0xf bank_mask:0xf// 00000000CA10: 0ACECEFA FF015333
	v_mul_f32_e32 v104, v14, v104                              // 00000000CA18: 0AD0D10E
	v_mul_f32_e32 v104, 0x41800000, v104                       // 00000000CA1C: 0AD0D0FF 41800000
	v_mul_f32_e32 v105, v14, v105                              // 00000000CA24: 0AD2D30E
	v_mul_f32_e32 v105, 0x41800000, v105                       // 00000000CA28: 0AD2D2FF 41800000
	v_mul_f32_e32 v106, v14, v106                              // 00000000CA30: 0AD4D50E
	v_mul_f32_e32 v106, 0x41800000, v106                       // 00000000CA34: 0AD4D4FF 41800000
	v_mul_f32_e32 v107, v14, v107                              // 00000000CA3C: 0AD6D70E
	v_mul_f32_e32 v107, 0x41800000, v107                       // 00000000CA40: 0AD6D6FF 41800000
	v_mul_f32_dpp v104, v51, v104 row_newbcast:4 row_mask:0xf bank_mask:0xf// 00000000CA48: 0AD0D0FA FF015433
	v_mul_f32_dpp v105, v51, v105 row_newbcast:5 row_mask:0xf bank_mask:0xf// 00000000CA50: 0AD2D2FA FF015533
	v_mul_f32_dpp v106, v51, v106 row_newbcast:6 row_mask:0xf bank_mask:0xf// 00000000CA58: 0AD4D4FA FF015633
	v_mul_f32_dpp v107, v51, v107 row_newbcast:7 row_mask:0xf bank_mask:0xf// 00000000CA60: 0AD6D6FA FF015733
	v_mul_f32_e32 v108, v15, v108                              // 00000000CA68: 0AD8D90F
	v_mul_f32_e32 v108, 0x41800000, v108                       // 00000000CA6C: 0AD8D8FF 41800000
	v_mul_f32_e32 v109, v15, v109                              // 00000000CA74: 0ADADB0F
	v_mul_f32_e32 v109, 0x41800000, v109                       // 00000000CA78: 0ADADAFF 41800000
	v_mul_f32_e32 v110, v15, v110                              // 00000000CA80: 0ADCDD0F
	v_mul_f32_e32 v110, 0x41800000, v110                       // 00000000CA84: 0ADCDCFF 41800000
	v_mul_f32_e32 v111, v15, v111                              // 00000000CA8C: 0ADEDF0F
	v_mul_f32_e32 v111, 0x41800000, v111                       // 00000000CA90: 0ADEDEFF 41800000
	v_mul_f32_dpp v108, v51, v108 row_newbcast:4 row_mask:0xf bank_mask:0xf// 00000000CA98: 0AD8D8FA FF015433
	v_mul_f32_dpp v109, v51, v109 row_newbcast:5 row_mask:0xf bank_mask:0xf// 00000000CAA0: 0ADADAFA FF015533
	v_mul_f32_dpp v110, v51, v110 row_newbcast:6 row_mask:0xf bank_mask:0xf// 00000000CAA8: 0ADCDCFA FF015633
	v_mul_f32_dpp v111, v51, v111 row_newbcast:7 row_mask:0xf bank_mask:0xf// 00000000CAB0: 0ADEDEFA FF015733
	v_mul_f32_e32 v112, v14, v112                              // 00000000CAB8: 0AE0E10E
	v_mul_f32_e32 v112, 0x41800000, v112                       // 00000000CABC: 0AE0E0FF 41800000
	v_mul_f32_e32 v113, v14, v113                              // 00000000CAC4: 0AE2E30E
	v_mul_f32_e32 v113, 0x41800000, v113                       // 00000000CAC8: 0AE2E2FF 41800000
	v_mul_f32_e32 v114, v14, v114                              // 00000000CAD0: 0AE4E50E
	v_mul_f32_e32 v114, 0x41800000, v114                       // 00000000CAD4: 0AE4E4FF 41800000
	v_mul_f32_e32 v115, v14, v115                              // 00000000CADC: 0AE6E70E
	v_mul_f32_e32 v115, 0x41800000, v115                       // 00000000CAE0: 0AE6E6FF 41800000
	v_mul_f32_dpp v112, v51, v112 row_newbcast:8 row_mask:0xf bank_mask:0xf// 00000000CAE8: 0AE0E0FA FF015833
	v_mul_f32_dpp v113, v51, v113 row_newbcast:9 row_mask:0xf bank_mask:0xf// 00000000CAF0: 0AE2E2FA FF015933
	v_mul_f32_dpp v114, v51, v114 row_newbcast:10 row_mask:0xf bank_mask:0xf// 00000000CAF8: 0AE4E4FA FF015A33
	v_mul_f32_dpp v115, v51, v115 row_newbcast:11 row_mask:0xf bank_mask:0xf// 00000000CB00: 0AE6E6FA FF015B33
	v_mul_f32_e32 v116, v15, v116                              // 00000000CB08: 0AE8E90F
	v_mul_f32_e32 v116, 0x41800000, v116                       // 00000000CB0C: 0AE8E8FF 41800000
	v_mul_f32_e32 v117, v15, v117                              // 00000000CB14: 0AEAEB0F
	v_mul_f32_e32 v117, 0x41800000, v117                       // 00000000CB18: 0AEAEAFF 41800000
	v_mul_f32_e32 v118, v15, v118                              // 00000000CB20: 0AECED0F
	v_mul_f32_e32 v118, 0x41800000, v118                       // 00000000CB24: 0AECECFF 41800000
	v_mul_f32_e32 v119, v15, v119                              // 00000000CB2C: 0AEEEF0F
	v_mul_f32_e32 v119, 0x41800000, v119                       // 00000000CB30: 0AEEEEFF 41800000
	v_mul_f32_dpp v116, v51, v116 row_newbcast:8 row_mask:0xf bank_mask:0xf// 00000000CB38: 0AE8E8FA FF015833
	v_mul_f32_dpp v117, v51, v117 row_newbcast:9 row_mask:0xf bank_mask:0xf// 00000000CB40: 0AEAEAFA FF015933
	v_mul_f32_dpp v118, v51, v118 row_newbcast:10 row_mask:0xf bank_mask:0xf// 00000000CB48: 0AECECFA FF015A33
	v_mul_f32_dpp v119, v51, v119 row_newbcast:11 row_mask:0xf bank_mask:0xf// 00000000CB50: 0AEEEEFA FF015B33
	v_mul_f32_e32 v120, v14, v120                              // 00000000CB58: 0AF0F10E
	v_mul_f32_e32 v120, 0x41800000, v120                       // 00000000CB5C: 0AF0F0FF 41800000
	v_mul_f32_e32 v121, v14, v121                              // 00000000CB64: 0AF2F30E
	v_mul_f32_e32 v121, 0x41800000, v121                       // 00000000CB68: 0AF2F2FF 41800000
	v_mul_f32_e32 v122, v14, v122                              // 00000000CB70: 0AF4F50E
	v_mul_f32_e32 v122, 0x41800000, v122                       // 00000000CB74: 0AF4F4FF 41800000
	v_mul_f32_e32 v123, v14, v123                              // 00000000CB7C: 0AF6F70E
	v_mul_f32_e32 v123, 0x41800000, v123                       // 00000000CB80: 0AF6F6FF 41800000
	v_mul_f32_dpp v120, v51, v120 row_newbcast:12 row_mask:0xf bank_mask:0xf// 00000000CB88: 0AF0F0FA FF015C33
	v_mul_f32_dpp v121, v51, v121 row_newbcast:13 row_mask:0xf bank_mask:0xf// 00000000CB90: 0AF2F2FA FF015D33
	v_mul_f32_dpp v122, v51, v122 row_newbcast:14 row_mask:0xf bank_mask:0xf// 00000000CB98: 0AF4F4FA FF015E33
	v_mul_f32_dpp v123, v51, v123 row_newbcast:15 row_mask:0xf bank_mask:0xf// 00000000CBA0: 0AF6F6FA FF015F33
	v_mul_f32_e32 v124, v15, v124                              // 00000000CBA8: 0AF8F90F
	v_mul_f32_e32 v124, 0x41800000, v124                       // 00000000CBAC: 0AF8F8FF 41800000
	v_mul_f32_e32 v125, v15, v125                              // 00000000CBB4: 0AFAFB0F
	v_mul_f32_e32 v125, 0x41800000, v125                       // 00000000CBB8: 0AFAFAFF 41800000
	v_mul_f32_e32 v126, v15, v126                              // 00000000CBC0: 0AFCFD0F
	v_mul_f32_e32 v126, 0x41800000, v126                       // 00000000CBC4: 0AFCFCFF 41800000
	v_mul_f32_e32 v127, v15, v127                              // 00000000CBCC: 0AFEFF0F
	v_mul_f32_e32 v127, 0x41800000, v127                       // 00000000CBD0: 0AFEFEFF 41800000
	v_mul_f32_dpp v124, v51, v124 row_newbcast:12 row_mask:0xf bank_mask:0xf// 00000000CBD8: 0AF8F8FA FF015C33
	v_mul_f32_dpp v125, v51, v125 row_newbcast:13 row_mask:0xf bank_mask:0xf// 00000000CBE0: 0AFAFAFA FF015D33
	v_mul_f32_dpp v126, v51, v126 row_newbcast:14 row_mask:0xf bank_mask:0xf// 00000000CBE8: 0AFCFCFA FF015E33
	v_mul_f32_dpp v127, v51, v127 row_newbcast:15 row_mask:0xf bank_mask:0xf// 00000000CBF0: 0AFEFEFA FF015F33
	s_waitcnt vmcnt(14)                                        // 00000000CBF8: BF8C0F7E
	buffer_load_dwordx4 a[64:67], v42, s[12:15], 0 offen       // 00000000CBFC: E05C1000 8083402A
	v_mul_f32_e32 v52, v128, v128                              // 00000000CC04: 0A690180
	v_mul_f32_e32 v53, v129, v129                              // 00000000CC08: 0A6B0381
	v_mul_f32_e32 v54, v130, v130                              // 00000000CC0C: 0A6D0582
	v_mul_f32_e32 v55, v131, v131                              // 00000000CC10: 0A6F0783
	v_fma_f32 v52, v52, s77, v1                                // 00000000CC14: D1CB0034 04049B34
	v_fma_f32 v53, v53, s77, v1                                // 00000000CC1C: D1CB0035 04049B35
	v_fma_f32 v54, v54, s77, v1                                // 00000000CC24: D1CB0036 04049B36
	v_fma_f32 v55, v55, s77, v1                                // 00000000CC2C: D1CB0037 04049B37
	v_mul_f32_e32 v52, v52, v128                               // 00000000CC34: 0A690134
	v_mul_f32_e32 v53, v53, v129                               // 00000000CC38: 0A6B0335
	v_mul_f32_e32 v54, v54, v130                               // 00000000CC3C: 0A6D0536
	v_mul_f32_e32 v55, v55, v131                               // 00000000CC40: 0A6F0737
	v_mul_f32_e64 v52, v52, s6                                 // 00000000CC44: D1050034 00000D34
	v_mul_f32_e64 v53, v53, s6                                 // 00000000CC4C: D1050035 00000D35
	v_mul_f32_e64 v54, v54, s6                                 // 00000000CC54: D1050036 00000D36
	v_mul_f32_e64 v55, v55, s6                                 // 00000000CC5C: D1050037 00000D37
	v_exp_f32_e32 v52, v52                                     // 00000000CC64: 7E684134
	v_exp_f32_e32 v53, v53                                     // 00000000CC68: 7E6A4135
	v_exp_f32_e32 v54, v54                                     // 00000000CC6C: 7E6C4136
	v_exp_f32_e32 v55, v55                                     // 00000000CC70: 7E6E4137
	v_add_f32_e64 v52, v52, 1.0                                // 00000000CC74: D1010034 0001E534
	v_add_f32_e64 v53, v53, 1.0                                // 00000000CC7C: D1010035 0001E535
	v_add_f32_e64 v54, v54, 1.0                                // 00000000CC84: D1010036 0001E536
	v_add_f32_e64 v55, v55, 1.0                                // 00000000CC8C: D1010037 0001E537
	v_rcp_f32_e32 v52, v52                                     // 00000000CC94: 7E684534
	v_rcp_f32_e32 v53, v53                                     // 00000000CC98: 7E6A4535
	v_rcp_f32_e32 v54, v54                                     // 00000000CC9C: 7E6C4536
	v_rcp_f32_e32 v55, v55                                     // 00000000CCA0: 7E6E4537
	v_mul_f32_e32 v128, v128, v52                              // 00000000CCA4: 0B006980
	v_mul_f32_e32 v129, v129, v53                              // 00000000CCA8: 0B026B81
	v_mul_f32_e32 v130, v130, v54                              // 00000000CCAC: 0B046D82
	v_mul_f32_e32 v131, v131, v55                              // 00000000CCB0: 0B066F83
	v_mul_f32_e32 v128, v128, v64                              // 00000000CCB4: 0B008180
	v_mul_f32_e32 v129, v129, v65                              // 00000000CCB8: 0B028381
	v_mul_f32_e32 v130, v130, v66                              // 00000000CCBC: 0B048582
	v_mul_f32_e32 v131, v131, v67                              // 00000000CCC0: 0B068783
	buffer_load_dwordx4 a[68:71], v43, s[12:15], 0 offen       // 00000000CCC4: E05C1000 8083442B
	v_mul_f32_e32 v52, v132, v132                              // 00000000CCCC: 0A690984
	v_mul_f32_e32 v53, v133, v133                              // 00000000CCD0: 0A6B0B85
	v_mul_f32_e32 v54, v134, v134                              // 00000000CCD4: 0A6D0D86
	v_mul_f32_e32 v55, v135, v135                              // 00000000CCD8: 0A6F0F87
	v_fma_f32 v52, v52, s77, v1                                // 00000000CCDC: D1CB0034 04049B34
	v_fma_f32 v53, v53, s77, v1                                // 00000000CCE4: D1CB0035 04049B35
	v_fma_f32 v54, v54, s77, v1                                // 00000000CCEC: D1CB0036 04049B36
	v_fma_f32 v55, v55, s77, v1                                // 00000000CCF4: D1CB0037 04049B37
	v_mul_f32_e32 v52, v52, v132                               // 00000000CCFC: 0A690934
	v_mul_f32_e32 v53, v53, v133                               // 00000000CD00: 0A6B0B35
	v_mul_f32_e32 v54, v54, v134                               // 00000000CD04: 0A6D0D36
	v_mul_f32_e32 v55, v55, v135                               // 00000000CD08: 0A6F0F37
	v_mul_f32_e64 v52, v52, s6                                 // 00000000CD0C: D1050034 00000D34
	v_mul_f32_e64 v53, v53, s6                                 // 00000000CD14: D1050035 00000D35
	v_mul_f32_e64 v54, v54, s6                                 // 00000000CD1C: D1050036 00000D36
	v_mul_f32_e64 v55, v55, s6                                 // 00000000CD24: D1050037 00000D37
	v_exp_f32_e32 v52, v52                                     // 00000000CD2C: 7E684134
	v_exp_f32_e32 v53, v53                                     // 00000000CD30: 7E6A4135
	v_exp_f32_e32 v54, v54                                     // 00000000CD34: 7E6C4136
	v_exp_f32_e32 v55, v55                                     // 00000000CD38: 7E6E4137
	v_add_f32_e64 v52, v52, 1.0                                // 00000000CD3C: D1010034 0001E534
	v_add_f32_e64 v53, v53, 1.0                                // 00000000CD44: D1010035 0001E535
	v_add_f32_e64 v54, v54, 1.0                                // 00000000CD4C: D1010036 0001E536
	v_add_f32_e64 v55, v55, 1.0                                // 00000000CD54: D1010037 0001E537
	v_rcp_f32_e32 v52, v52                                     // 00000000CD5C: 7E684534
	v_rcp_f32_e32 v53, v53                                     // 00000000CD60: 7E6A4535
	v_rcp_f32_e32 v54, v54                                     // 00000000CD64: 7E6C4536
	v_rcp_f32_e32 v55, v55                                     // 00000000CD68: 7E6E4537
	v_mul_f32_e32 v132, v132, v52                              // 00000000CD6C: 0B086984
	v_mul_f32_e32 v133, v133, v53                              // 00000000CD70: 0B0A6B85
	v_mul_f32_e32 v134, v134, v54                              // 00000000CD74: 0B0C6D86
	v_mul_f32_e32 v135, v135, v55                              // 00000000CD78: 0B0E6F87
	v_mul_f32_e32 v132, v132, v68                              // 00000000CD7C: 0B088984
	v_mul_f32_e32 v133, v133, v69                              // 00000000CD80: 0B0A8B85
	v_mul_f32_e32 v134, v134, v70                              // 00000000CD84: 0B0C8D86
	v_mul_f32_e32 v135, v135, v71                              // 00000000CD88: 0B0E8F87
	s_waitcnt vmcnt(14)                                        // 00000000CD8C: BF8C0F7E
	buffer_load_dwordx4 a[72:75], v44, s[12:15], 0 offen       // 00000000CD90: E05C1000 8083482C
	v_mul_f32_e32 v52, v136, v136                              // 00000000CD98: 0A691188
	v_mul_f32_e32 v53, v137, v137                              // 00000000CD9C: 0A6B1389
	v_mul_f32_e32 v54, v138, v138                              // 00000000CDA0: 0A6D158A
	v_mul_f32_e32 v55, v139, v139                              // 00000000CDA4: 0A6F178B
	v_fma_f32 v52, v52, s77, v1                                // 00000000CDA8: D1CB0034 04049B34
	v_fma_f32 v53, v53, s77, v1                                // 00000000CDB0: D1CB0035 04049B35
	v_fma_f32 v54, v54, s77, v1                                // 00000000CDB8: D1CB0036 04049B36
	v_fma_f32 v55, v55, s77, v1                                // 00000000CDC0: D1CB0037 04049B37
	v_mul_f32_e32 v52, v52, v136                               // 00000000CDC8: 0A691134
	v_mul_f32_e32 v53, v53, v137                               // 00000000CDCC: 0A6B1335
	v_mul_f32_e32 v54, v54, v138                               // 00000000CDD0: 0A6D1536
	v_mul_f32_e32 v55, v55, v139                               // 00000000CDD4: 0A6F1737
	v_mul_f32_e64 v52, v52, s6                                 // 00000000CDD8: D1050034 00000D34
	v_mul_f32_e64 v53, v53, s6                                 // 00000000CDE0: D1050035 00000D35
	v_mul_f32_e64 v54, v54, s6                                 // 00000000CDE8: D1050036 00000D36
	v_mul_f32_e64 v55, v55, s6                                 // 00000000CDF0: D1050037 00000D37
	v_exp_f32_e32 v52, v52                                     // 00000000CDF8: 7E684134
	v_exp_f32_e32 v53, v53                                     // 00000000CDFC: 7E6A4135
	v_exp_f32_e32 v54, v54                                     // 00000000CE00: 7E6C4136
	v_exp_f32_e32 v55, v55                                     // 00000000CE04: 7E6E4137
	v_add_f32_e64 v52, v52, 1.0                                // 00000000CE08: D1010034 0001E534
	v_add_f32_e64 v53, v53, 1.0                                // 00000000CE10: D1010035 0001E535
	v_add_f32_e64 v54, v54, 1.0                                // 00000000CE18: D1010036 0001E536
	v_add_f32_e64 v55, v55, 1.0                                // 00000000CE20: D1010037 0001E537
	v_rcp_f32_e32 v52, v52                                     // 00000000CE28: 7E684534
	v_rcp_f32_e32 v53, v53                                     // 00000000CE2C: 7E6A4535
	v_rcp_f32_e32 v54, v54                                     // 00000000CE30: 7E6C4536
	v_rcp_f32_e32 v55, v55                                     // 00000000CE34: 7E6E4537
	v_mul_f32_e32 v136, v136, v52                              // 00000000CE38: 0B106988
	v_mul_f32_e32 v137, v137, v53                              // 00000000CE3C: 0B126B89
	v_mul_f32_e32 v138, v138, v54                              // 00000000CE40: 0B146D8A
	v_mul_f32_e32 v139, v139, v55                              // 00000000CE44: 0B166F8B
	v_mul_f32_e32 v136, v136, v72                              // 00000000CE48: 0B109188
	v_mul_f32_e32 v137, v137, v73                              // 00000000CE4C: 0B129389
	v_mul_f32_e32 v138, v138, v74                              // 00000000CE50: 0B14958A
	v_mul_f32_e32 v139, v139, v75                              // 00000000CE54: 0B16978B
	buffer_load_dwordx4 a[76:79], v45, s[12:15], 0 offen       // 00000000CE58: E05C1000 80834C2D
	s_add_u32 s12, s78, s12                                    // 00000000CE60: 800C0C4E
	s_addc_u32 s13, 0, s13                                     // 00000000CE64: 820D0D80
	v_mul_f32_e32 v52, v140, v140                              // 00000000CE68: 0A69198C
	v_mul_f32_e32 v53, v141, v141                              // 00000000CE6C: 0A6B1B8D
	v_mul_f32_e32 v54, v142, v142                              // 00000000CE70: 0A6D1D8E
	v_mul_f32_e32 v55, v143, v143                              // 00000000CE74: 0A6F1F8F
	v_fma_f32 v52, v52, s77, v1                                // 00000000CE78: D1CB0034 04049B34
	v_fma_f32 v53, v53, s77, v1                                // 00000000CE80: D1CB0035 04049B35
	v_fma_f32 v54, v54, s77, v1                                // 00000000CE88: D1CB0036 04049B36
	v_fma_f32 v55, v55, s77, v1                                // 00000000CE90: D1CB0037 04049B37
	v_mul_f32_e32 v52, v52, v140                               // 00000000CE98: 0A691934
	v_mul_f32_e32 v53, v53, v141                               // 00000000CE9C: 0A6B1B35
	v_mul_f32_e32 v54, v54, v142                               // 00000000CEA0: 0A6D1D36
	v_mul_f32_e32 v55, v55, v143                               // 00000000CEA4: 0A6F1F37
	v_mul_f32_e64 v52, v52, s6                                 // 00000000CEA8: D1050034 00000D34
	v_mul_f32_e64 v53, v53, s6                                 // 00000000CEB0: D1050035 00000D35
	v_mul_f32_e64 v54, v54, s6                                 // 00000000CEB8: D1050036 00000D36
	v_mul_f32_e64 v55, v55, s6                                 // 00000000CEC0: D1050037 00000D37
	v_exp_f32_e32 v52, v52                                     // 00000000CEC8: 7E684134
	v_exp_f32_e32 v53, v53                                     // 00000000CECC: 7E6A4135
	v_exp_f32_e32 v54, v54                                     // 00000000CED0: 7E6C4136
	v_exp_f32_e32 v55, v55                                     // 00000000CED4: 7E6E4137
	v_add_f32_e64 v52, v52, 1.0                                // 00000000CED8: D1010034 0001E534
	v_add_f32_e64 v53, v53, 1.0                                // 00000000CEE0: D1010035 0001E535
	v_add_f32_e64 v54, v54, 1.0                                // 00000000CEE8: D1010036 0001E536
	v_add_f32_e64 v55, v55, 1.0                                // 00000000CEF0: D1010037 0001E537
	v_rcp_f32_e32 v52, v52                                     // 00000000CEF8: 7E684534
	v_rcp_f32_e32 v53, v53                                     // 00000000CEFC: 7E6A4535
	v_rcp_f32_e32 v54, v54                                     // 00000000CF00: 7E6C4536
	v_rcp_f32_e32 v55, v55                                     // 00000000CF04: 7E6E4537
	v_mul_f32_e32 v140, v140, v52                              // 00000000CF08: 0B18698C
	v_mul_f32_e32 v141, v141, v53                              // 00000000CF0C: 0B1A6B8D
	v_mul_f32_e32 v142, v142, v54                              // 00000000CF10: 0B1C6D8E
	v_mul_f32_e32 v143, v143, v55                              // 00000000CF14: 0B1E6F8F
	v_mul_f32_e32 v140, v140, v76                              // 00000000CF18: 0B18998C
	v_mul_f32_e32 v141, v141, v77                              // 00000000CF1C: 0B1A9B8D
	v_mul_f32_e32 v142, v142, v78                              // 00000000CF20: 0B1C9D8E
	v_mul_f32_e32 v143, v143, v79                              // 00000000CF24: 0B1E9F8F
	s_waitcnt vmcnt(14)                                        // 00000000CF28: BF8C0F7E
	buffer_load_dwordx4 a[80:83], v42, s[12:15], 0 offen       // 00000000CF2C: E05C1000 8083502A
	v_mul_f32_e32 v52, v144, v144                              // 00000000CF34: 0A692190
	v_mul_f32_e32 v53, v145, v145                              // 00000000CF38: 0A6B2391
	v_mul_f32_e32 v54, v146, v146                              // 00000000CF3C: 0A6D2592
	v_mul_f32_e32 v55, v147, v147                              // 00000000CF40: 0A6F2793
	v_fma_f32 v52, v52, s77, v1                                // 00000000CF44: D1CB0034 04049B34
	v_fma_f32 v53, v53, s77, v1                                // 00000000CF4C: D1CB0035 04049B35
	v_fma_f32 v54, v54, s77, v1                                // 00000000CF54: D1CB0036 04049B36
	v_fma_f32 v55, v55, s77, v1                                // 00000000CF5C: D1CB0037 04049B37
	v_mul_f32_e32 v52, v52, v144                               // 00000000CF64: 0A692134
	v_mul_f32_e32 v53, v53, v145                               // 00000000CF68: 0A6B2335
	v_mul_f32_e32 v54, v54, v146                               // 00000000CF6C: 0A6D2536
	v_mul_f32_e32 v55, v55, v147                               // 00000000CF70: 0A6F2737
	v_mul_f32_e64 v52, v52, s6                                 // 00000000CF74: D1050034 00000D34
	v_mul_f32_e64 v53, v53, s6                                 // 00000000CF7C: D1050035 00000D35
	v_mul_f32_e64 v54, v54, s6                                 // 00000000CF84: D1050036 00000D36
	v_mul_f32_e64 v55, v55, s6                                 // 00000000CF8C: D1050037 00000D37
	v_exp_f32_e32 v52, v52                                     // 00000000CF94: 7E684134
	v_exp_f32_e32 v53, v53                                     // 00000000CF98: 7E6A4135
	v_exp_f32_e32 v54, v54                                     // 00000000CF9C: 7E6C4136
	v_exp_f32_e32 v55, v55                                     // 00000000CFA0: 7E6E4137
	v_add_f32_e64 v52, v52, 1.0                                // 00000000CFA4: D1010034 0001E534
	v_add_f32_e64 v53, v53, 1.0                                // 00000000CFAC: D1010035 0001E535
	v_add_f32_e64 v54, v54, 1.0                                // 00000000CFB4: D1010036 0001E536
	v_add_f32_e64 v55, v55, 1.0                                // 00000000CFBC: D1010037 0001E537
	v_rcp_f32_e32 v52, v52                                     // 00000000CFC4: 7E684534
	v_rcp_f32_e32 v53, v53                                     // 00000000CFC8: 7E6A4535
	v_rcp_f32_e32 v54, v54                                     // 00000000CFCC: 7E6C4536
	v_rcp_f32_e32 v55, v55                                     // 00000000CFD0: 7E6E4537
	v_mul_f32_e32 v144, v144, v52                              // 00000000CFD4: 0B206990
	v_mul_f32_e32 v145, v145, v53                              // 00000000CFD8: 0B226B91
	v_mul_f32_e32 v146, v146, v54                              // 00000000CFDC: 0B246D92
	v_mul_f32_e32 v147, v147, v55                              // 00000000CFE0: 0B266F93
	v_mul_f32_e32 v144, v144, v80                              // 00000000CFE4: 0B20A190
	v_mul_f32_e32 v145, v145, v81                              // 00000000CFE8: 0B22A391
	v_mul_f32_e32 v146, v146, v82                              // 00000000CFEC: 0B24A592
	v_mul_f32_e32 v147, v147, v83                              // 00000000CFF0: 0B26A793
	buffer_load_dwordx4 a[84:87], v43, s[12:15], 0 offen       // 00000000CFF4: E05C1000 8083542B
	v_mul_f32_e32 v52, v148, v148                              // 00000000CFFC: 0A692994
	v_mul_f32_e32 v53, v149, v149                              // 00000000D000: 0A6B2B95
	v_mul_f32_e32 v54, v150, v150                              // 00000000D004: 0A6D2D96
	v_mul_f32_e32 v55, v151, v151                              // 00000000D008: 0A6F2F97
	v_fma_f32 v52, v52, s77, v1                                // 00000000D00C: D1CB0034 04049B34
	v_fma_f32 v53, v53, s77, v1                                // 00000000D014: D1CB0035 04049B35
	v_fma_f32 v54, v54, s77, v1                                // 00000000D01C: D1CB0036 04049B36
	v_fma_f32 v55, v55, s77, v1                                // 00000000D024: D1CB0037 04049B37
	v_mul_f32_e32 v52, v52, v148                               // 00000000D02C: 0A692934
	v_mul_f32_e32 v53, v53, v149                               // 00000000D030: 0A6B2B35
	v_mul_f32_e32 v54, v54, v150                               // 00000000D034: 0A6D2D36
	v_mul_f32_e32 v55, v55, v151                               // 00000000D038: 0A6F2F37
	v_mul_f32_e64 v52, v52, s6                                 // 00000000D03C: D1050034 00000D34
	v_mul_f32_e64 v53, v53, s6                                 // 00000000D044: D1050035 00000D35
	v_mul_f32_e64 v54, v54, s6                                 // 00000000D04C: D1050036 00000D36
	v_mul_f32_e64 v55, v55, s6                                 // 00000000D054: D1050037 00000D37
	v_exp_f32_e32 v52, v52                                     // 00000000D05C: 7E684134
	v_exp_f32_e32 v53, v53                                     // 00000000D060: 7E6A4135
	v_exp_f32_e32 v54, v54                                     // 00000000D064: 7E6C4136
	v_exp_f32_e32 v55, v55                                     // 00000000D068: 7E6E4137
	v_add_f32_e64 v52, v52, 1.0                                // 00000000D06C: D1010034 0001E534
	v_add_f32_e64 v53, v53, 1.0                                // 00000000D074: D1010035 0001E535
	v_add_f32_e64 v54, v54, 1.0                                // 00000000D07C: D1010036 0001E536
	v_add_f32_e64 v55, v55, 1.0                                // 00000000D084: D1010037 0001E537
	v_rcp_f32_e32 v52, v52                                     // 00000000D08C: 7E684534
	v_rcp_f32_e32 v53, v53                                     // 00000000D090: 7E6A4535
	v_rcp_f32_e32 v54, v54                                     // 00000000D094: 7E6C4536
	v_rcp_f32_e32 v55, v55                                     // 00000000D098: 7E6E4537
	v_mul_f32_e32 v148, v148, v52                              // 00000000D09C: 0B286994
	v_mul_f32_e32 v149, v149, v53                              // 00000000D0A0: 0B2A6B95
	v_mul_f32_e32 v150, v150, v54                              // 00000000D0A4: 0B2C6D96
	v_mul_f32_e32 v151, v151, v55                              // 00000000D0A8: 0B2E6F97
	v_mul_f32_e32 v148, v148, v84                              // 00000000D0AC: 0B28A994
	v_mul_f32_e32 v149, v149, v85                              // 00000000D0B0: 0B2AAB95
	v_mul_f32_e32 v150, v150, v86                              // 00000000D0B4: 0B2CAD96
	v_mul_f32_e32 v151, v151, v87                              // 00000000D0B8: 0B2EAF97
	s_waitcnt vmcnt(14)                                        // 00000000D0BC: BF8C0F7E
	buffer_load_dwordx4 a[88:91], v44, s[12:15], 0 offen       // 00000000D0C0: E05C1000 8083582C
	v_mul_f32_e32 v52, v152, v152                              // 00000000D0C8: 0A693198
	v_mul_f32_e32 v53, v153, v153                              // 00000000D0CC: 0A6B3399
	v_mul_f32_e32 v54, v154, v154                              // 00000000D0D0: 0A6D359A
	v_mul_f32_e32 v55, v155, v155                              // 00000000D0D4: 0A6F379B
	v_fma_f32 v52, v52, s77, v1                                // 00000000D0D8: D1CB0034 04049B34
	v_fma_f32 v53, v53, s77, v1                                // 00000000D0E0: D1CB0035 04049B35
	v_fma_f32 v54, v54, s77, v1                                // 00000000D0E8: D1CB0036 04049B36
	v_fma_f32 v55, v55, s77, v1                                // 00000000D0F0: D1CB0037 04049B37
	v_mul_f32_e32 v52, v52, v152                               // 00000000D0F8: 0A693134
	v_mul_f32_e32 v53, v53, v153                               // 00000000D0FC: 0A6B3335
	v_mul_f32_e32 v54, v54, v154                               // 00000000D100: 0A6D3536
	v_mul_f32_e32 v55, v55, v155                               // 00000000D104: 0A6F3737
	v_mul_f32_e64 v52, v52, s6                                 // 00000000D108: D1050034 00000D34
	v_mul_f32_e64 v53, v53, s6                                 // 00000000D110: D1050035 00000D35
	v_mul_f32_e64 v54, v54, s6                                 // 00000000D118: D1050036 00000D36
	v_mul_f32_e64 v55, v55, s6                                 // 00000000D120: D1050037 00000D37
	v_exp_f32_e32 v52, v52                                     // 00000000D128: 7E684134
	v_exp_f32_e32 v53, v53                                     // 00000000D12C: 7E6A4135
	v_exp_f32_e32 v54, v54                                     // 00000000D130: 7E6C4136
	v_exp_f32_e32 v55, v55                                     // 00000000D134: 7E6E4137
	v_add_f32_e64 v52, v52, 1.0                                // 00000000D138: D1010034 0001E534
	v_add_f32_e64 v53, v53, 1.0                                // 00000000D140: D1010035 0001E535
	v_add_f32_e64 v54, v54, 1.0                                // 00000000D148: D1010036 0001E536
	v_add_f32_e64 v55, v55, 1.0                                // 00000000D150: D1010037 0001E537
	v_rcp_f32_e32 v52, v52                                     // 00000000D158: 7E684534
	v_rcp_f32_e32 v53, v53                                     // 00000000D15C: 7E6A4535
	v_rcp_f32_e32 v54, v54                                     // 00000000D160: 7E6C4536
	v_rcp_f32_e32 v55, v55                                     // 00000000D164: 7E6E4537
	v_mul_f32_e32 v152, v152, v52                              // 00000000D168: 0B306998
	v_mul_f32_e32 v153, v153, v53                              // 00000000D16C: 0B326B99
	v_mul_f32_e32 v154, v154, v54                              // 00000000D170: 0B346D9A
	v_mul_f32_e32 v155, v155, v55                              // 00000000D174: 0B366F9B
	v_mul_f32_e32 v152, v152, v88                              // 00000000D178: 0B30B198
	v_mul_f32_e32 v153, v153, v89                              // 00000000D17C: 0B32B399
	v_mul_f32_e32 v154, v154, v90                              // 00000000D180: 0B34B59A
	v_mul_f32_e32 v155, v155, v91                              // 00000000D184: 0B36B79B
	buffer_load_dwordx4 a[92:95], v45, s[12:15], 0 offen       // 00000000D188: E05C1000 80835C2D
	s_add_u32 s12, s78, s12                                    // 00000000D190: 800C0C4E
	s_addc_u32 s13, 0, s13                                     // 00000000D194: 820D0D80
	v_mul_f32_e32 v52, v156, v156                              // 00000000D198: 0A69399C
	v_mul_f32_e32 v53, v157, v157                              // 00000000D19C: 0A6B3B9D
	v_mul_f32_e32 v54, v158, v158                              // 00000000D1A0: 0A6D3D9E
	v_mul_f32_e32 v55, v159, v159                              // 00000000D1A4: 0A6F3F9F
	v_fma_f32 v52, v52, s77, v1                                // 00000000D1A8: D1CB0034 04049B34
	v_fma_f32 v53, v53, s77, v1                                // 00000000D1B0: D1CB0035 04049B35
	v_fma_f32 v54, v54, s77, v1                                // 00000000D1B8: D1CB0036 04049B36
	v_fma_f32 v55, v55, s77, v1                                // 00000000D1C0: D1CB0037 04049B37
	v_mul_f32_e32 v52, v52, v156                               // 00000000D1C8: 0A693934
	v_mul_f32_e32 v53, v53, v157                               // 00000000D1CC: 0A6B3B35
	v_mul_f32_e32 v54, v54, v158                               // 00000000D1D0: 0A6D3D36
	v_mul_f32_e32 v55, v55, v159                               // 00000000D1D4: 0A6F3F37
	v_mul_f32_e64 v52, v52, s6                                 // 00000000D1D8: D1050034 00000D34
	v_mul_f32_e64 v53, v53, s6                                 // 00000000D1E0: D1050035 00000D35
	v_mul_f32_e64 v54, v54, s6                                 // 00000000D1E8: D1050036 00000D36
	v_mul_f32_e64 v55, v55, s6                                 // 00000000D1F0: D1050037 00000D37
	v_exp_f32_e32 v52, v52                                     // 00000000D1F8: 7E684134
	v_exp_f32_e32 v53, v53                                     // 00000000D1FC: 7E6A4135
	v_exp_f32_e32 v54, v54                                     // 00000000D200: 7E6C4136
	v_exp_f32_e32 v55, v55                                     // 00000000D204: 7E6E4137
	v_add_f32_e64 v52, v52, 1.0                                // 00000000D208: D1010034 0001E534
	v_add_f32_e64 v53, v53, 1.0                                // 00000000D210: D1010035 0001E535
	v_add_f32_e64 v54, v54, 1.0                                // 00000000D218: D1010036 0001E536
	v_add_f32_e64 v55, v55, 1.0                                // 00000000D220: D1010037 0001E537
	v_rcp_f32_e32 v52, v52                                     // 00000000D228: 7E684534
	v_rcp_f32_e32 v53, v53                                     // 00000000D22C: 7E6A4535
	v_rcp_f32_e32 v54, v54                                     // 00000000D230: 7E6C4536
	v_rcp_f32_e32 v55, v55                                     // 00000000D234: 7E6E4537
	v_mul_f32_e32 v156, v156, v52                              // 00000000D238: 0B38699C
	v_mul_f32_e32 v157, v157, v53                              // 00000000D23C: 0B3A6B9D
	v_mul_f32_e32 v158, v158, v54                              // 00000000D240: 0B3C6D9E
	v_mul_f32_e32 v159, v159, v55                              // 00000000D244: 0B3E6F9F
	v_mul_f32_e32 v156, v156, v92                              // 00000000D248: 0B38B99C
	v_mul_f32_e32 v157, v157, v93                              // 00000000D24C: 0B3ABB9D
	v_mul_f32_e32 v158, v158, v94                              // 00000000D250: 0B3CBD9E
	v_mul_f32_e32 v159, v159, v95                              // 00000000D254: 0B3EBF9F
	s_waitcnt vmcnt(14)                                        // 00000000D258: BF8C0F7E
	buffer_load_dwordx4 a[96:99], v42, s[12:15], 0 offen       // 00000000D25C: E05C1000 8083602A
	v_mul_f32_e32 v52, v160, v160                              // 00000000D264: 0A6941A0
	v_mul_f32_e32 v53, v161, v161                              // 00000000D268: 0A6B43A1
	v_mul_f32_e32 v54, v162, v162                              // 00000000D26C: 0A6D45A2
	v_mul_f32_e32 v55, v163, v163                              // 00000000D270: 0A6F47A3
	v_fma_f32 v52, v52, s77, v1                                // 00000000D274: D1CB0034 04049B34
	v_fma_f32 v53, v53, s77, v1                                // 00000000D27C: D1CB0035 04049B35
	v_fma_f32 v54, v54, s77, v1                                // 00000000D284: D1CB0036 04049B36
	v_fma_f32 v55, v55, s77, v1                                // 00000000D28C: D1CB0037 04049B37
	v_mul_f32_e32 v52, v52, v160                               // 00000000D294: 0A694134
	v_mul_f32_e32 v53, v53, v161                               // 00000000D298: 0A6B4335
	v_mul_f32_e32 v54, v54, v162                               // 00000000D29C: 0A6D4536
	v_mul_f32_e32 v55, v55, v163                               // 00000000D2A0: 0A6F4737
	v_mul_f32_e64 v52, v52, s6                                 // 00000000D2A4: D1050034 00000D34
	v_mul_f32_e64 v53, v53, s6                                 // 00000000D2AC: D1050035 00000D35
	v_mul_f32_e64 v54, v54, s6                                 // 00000000D2B4: D1050036 00000D36
	v_mul_f32_e64 v55, v55, s6                                 // 00000000D2BC: D1050037 00000D37
	v_exp_f32_e32 v52, v52                                     // 00000000D2C4: 7E684134
	v_exp_f32_e32 v53, v53                                     // 00000000D2C8: 7E6A4135
	v_exp_f32_e32 v54, v54                                     // 00000000D2CC: 7E6C4136
	v_exp_f32_e32 v55, v55                                     // 00000000D2D0: 7E6E4137
	v_add_f32_e64 v52, v52, 1.0                                // 00000000D2D4: D1010034 0001E534
	v_add_f32_e64 v53, v53, 1.0                                // 00000000D2DC: D1010035 0001E535
	v_add_f32_e64 v54, v54, 1.0                                // 00000000D2E4: D1010036 0001E536
	v_add_f32_e64 v55, v55, 1.0                                // 00000000D2EC: D1010037 0001E537
	v_rcp_f32_e32 v52, v52                                     // 00000000D2F4: 7E684534
	v_rcp_f32_e32 v53, v53                                     // 00000000D2F8: 7E6A4535
	v_rcp_f32_e32 v54, v54                                     // 00000000D2FC: 7E6C4536
	v_rcp_f32_e32 v55, v55                                     // 00000000D300: 7E6E4537
	v_mul_f32_e32 v160, v160, v52                              // 00000000D304: 0B4069A0
	v_mul_f32_e32 v161, v161, v53                              // 00000000D308: 0B426BA1
	v_mul_f32_e32 v162, v162, v54                              // 00000000D30C: 0B446DA2
	v_mul_f32_e32 v163, v163, v55                              // 00000000D310: 0B466FA3
	v_mul_f32_e32 v160, v160, v96                              // 00000000D314: 0B40C1A0
	v_mul_f32_e32 v161, v161, v97                              // 00000000D318: 0B42C3A1
	v_mul_f32_e32 v162, v162, v98                              // 00000000D31C: 0B44C5A2
	v_mul_f32_e32 v163, v163, v99                              // 00000000D320: 0B46C7A3
	buffer_load_dwordx4 a[100:103], v43, s[12:15], 0 offen     // 00000000D324: E05C1000 8083642B
	v_mul_f32_e32 v52, v164, v164                              // 00000000D32C: 0A6949A4
	v_mul_f32_e32 v53, v165, v165                              // 00000000D330: 0A6B4BA5
	v_mul_f32_e32 v54, v166, v166                              // 00000000D334: 0A6D4DA6
	v_mul_f32_e32 v55, v167, v167                              // 00000000D338: 0A6F4FA7
	v_fma_f32 v52, v52, s77, v1                                // 00000000D33C: D1CB0034 04049B34
	v_fma_f32 v53, v53, s77, v1                                // 00000000D344: D1CB0035 04049B35
	v_fma_f32 v54, v54, s77, v1                                // 00000000D34C: D1CB0036 04049B36
	v_fma_f32 v55, v55, s77, v1                                // 00000000D354: D1CB0037 04049B37
	v_mul_f32_e32 v52, v52, v164                               // 00000000D35C: 0A694934
	v_mul_f32_e32 v53, v53, v165                               // 00000000D360: 0A6B4B35
	v_mul_f32_e32 v54, v54, v166                               // 00000000D364: 0A6D4D36
	v_mul_f32_e32 v55, v55, v167                               // 00000000D368: 0A6F4F37
	v_mul_f32_e64 v52, v52, s6                                 // 00000000D36C: D1050034 00000D34
	v_mul_f32_e64 v53, v53, s6                                 // 00000000D374: D1050035 00000D35
	v_mul_f32_e64 v54, v54, s6                                 // 00000000D37C: D1050036 00000D36
	v_mul_f32_e64 v55, v55, s6                                 // 00000000D384: D1050037 00000D37
	v_exp_f32_e32 v52, v52                                     // 00000000D38C: 7E684134
	v_exp_f32_e32 v53, v53                                     // 00000000D390: 7E6A4135
	v_exp_f32_e32 v54, v54                                     // 00000000D394: 7E6C4136
	v_exp_f32_e32 v55, v55                                     // 00000000D398: 7E6E4137
	v_add_f32_e64 v52, v52, 1.0                                // 00000000D39C: D1010034 0001E534
	v_add_f32_e64 v53, v53, 1.0                                // 00000000D3A4: D1010035 0001E535
	v_add_f32_e64 v54, v54, 1.0                                // 00000000D3AC: D1010036 0001E536
	v_add_f32_e64 v55, v55, 1.0                                // 00000000D3B4: D1010037 0001E537
	v_rcp_f32_e32 v52, v52                                     // 00000000D3BC: 7E684534
	v_rcp_f32_e32 v53, v53                                     // 00000000D3C0: 7E6A4535
	v_rcp_f32_e32 v54, v54                                     // 00000000D3C4: 7E6C4536
	v_rcp_f32_e32 v55, v55                                     // 00000000D3C8: 7E6E4537
	v_mul_f32_e32 v164, v164, v52                              // 00000000D3CC: 0B4869A4
	v_mul_f32_e32 v165, v165, v53                              // 00000000D3D0: 0B4A6BA5
	v_mul_f32_e32 v166, v166, v54                              // 00000000D3D4: 0B4C6DA6
	v_mul_f32_e32 v167, v167, v55                              // 00000000D3D8: 0B4E6FA7
	v_mul_f32_e32 v164, v164, v100                             // 00000000D3DC: 0B48C9A4
	v_mul_f32_e32 v165, v165, v101                             // 00000000D3E0: 0B4ACBA5
	v_mul_f32_e32 v166, v166, v102                             // 00000000D3E4: 0B4CCDA6
	v_mul_f32_e32 v167, v167, v103                             // 00000000D3E8: 0B4ECFA7
	s_waitcnt vmcnt(14)                                        // 00000000D3EC: BF8C0F7E
	buffer_load_dwordx4 a[104:107], v44, s[12:15], 0 offen     // 00000000D3F0: E05C1000 8083682C
	v_mul_f32_e32 v52, v168, v168                              // 00000000D3F8: 0A6951A8
	v_mul_f32_e32 v53, v169, v169                              // 00000000D3FC: 0A6B53A9
	v_mul_f32_e32 v54, v170, v170                              // 00000000D400: 0A6D55AA
	v_mul_f32_e32 v55, v171, v171                              // 00000000D404: 0A6F57AB
	v_fma_f32 v52, v52, s77, v1                                // 00000000D408: D1CB0034 04049B34
	v_fma_f32 v53, v53, s77, v1                                // 00000000D410: D1CB0035 04049B35
	v_fma_f32 v54, v54, s77, v1                                // 00000000D418: D1CB0036 04049B36
	v_fma_f32 v55, v55, s77, v1                                // 00000000D420: D1CB0037 04049B37
	v_mul_f32_e32 v52, v52, v168                               // 00000000D428: 0A695134
	v_mul_f32_e32 v53, v53, v169                               // 00000000D42C: 0A6B5335
	v_mul_f32_e32 v54, v54, v170                               // 00000000D430: 0A6D5536
	v_mul_f32_e32 v55, v55, v171                               // 00000000D434: 0A6F5737
	v_mul_f32_e64 v52, v52, s6                                 // 00000000D438: D1050034 00000D34
	v_mul_f32_e64 v53, v53, s6                                 // 00000000D440: D1050035 00000D35
	v_mul_f32_e64 v54, v54, s6                                 // 00000000D448: D1050036 00000D36
	v_mul_f32_e64 v55, v55, s6                                 // 00000000D450: D1050037 00000D37
	v_exp_f32_e32 v52, v52                                     // 00000000D458: 7E684134
	v_exp_f32_e32 v53, v53                                     // 00000000D45C: 7E6A4135
	v_exp_f32_e32 v54, v54                                     // 00000000D460: 7E6C4136
	v_exp_f32_e32 v55, v55                                     // 00000000D464: 7E6E4137
	v_add_f32_e64 v52, v52, 1.0                                // 00000000D468: D1010034 0001E534
	v_add_f32_e64 v53, v53, 1.0                                // 00000000D470: D1010035 0001E535
	v_add_f32_e64 v54, v54, 1.0                                // 00000000D478: D1010036 0001E536
	v_add_f32_e64 v55, v55, 1.0                                // 00000000D480: D1010037 0001E537
	v_rcp_f32_e32 v52, v52                                     // 00000000D488: 7E684534
	v_rcp_f32_e32 v53, v53                                     // 00000000D48C: 7E6A4535
	v_rcp_f32_e32 v54, v54                                     // 00000000D490: 7E6C4536
	v_rcp_f32_e32 v55, v55                                     // 00000000D494: 7E6E4537
	v_mul_f32_e32 v168, v168, v52                              // 00000000D498: 0B5069A8
	v_mul_f32_e32 v169, v169, v53                              // 00000000D49C: 0B526BA9
	v_mul_f32_e32 v170, v170, v54                              // 00000000D4A0: 0B546DAA
	v_mul_f32_e32 v171, v171, v55                              // 00000000D4A4: 0B566FAB
	v_mul_f32_e32 v168, v168, v104                             // 00000000D4A8: 0B50D1A8
	v_mul_f32_e32 v169, v169, v105                             // 00000000D4AC: 0B52D3A9
	v_mul_f32_e32 v170, v170, v106                             // 00000000D4B0: 0B54D5AA
	v_mul_f32_e32 v171, v171, v107                             // 00000000D4B4: 0B56D7AB
	buffer_load_dwordx4 a[108:111], v45, s[12:15], 0 offen     // 00000000D4B8: E05C1000 80836C2D
	s_add_u32 s12, s78, s12                                    // 00000000D4C0: 800C0C4E
	s_addc_u32 s13, 0, s13                                     // 00000000D4C4: 820D0D80
	v_mul_f32_e32 v52, v172, v172                              // 00000000D4C8: 0A6959AC
	v_mul_f32_e32 v53, v173, v173                              // 00000000D4CC: 0A6B5BAD
	v_mul_f32_e32 v54, v174, v174                              // 00000000D4D0: 0A6D5DAE
	v_mul_f32_e32 v55, v175, v175                              // 00000000D4D4: 0A6F5FAF
	v_fma_f32 v52, v52, s77, v1                                // 00000000D4D8: D1CB0034 04049B34
	v_fma_f32 v53, v53, s77, v1                                // 00000000D4E0: D1CB0035 04049B35
	v_fma_f32 v54, v54, s77, v1                                // 00000000D4E8: D1CB0036 04049B36
	v_fma_f32 v55, v55, s77, v1                                // 00000000D4F0: D1CB0037 04049B37
	v_mul_f32_e32 v52, v52, v172                               // 00000000D4F8: 0A695934
	v_mul_f32_e32 v53, v53, v173                               // 00000000D4FC: 0A6B5B35
	v_mul_f32_e32 v54, v54, v174                               // 00000000D500: 0A6D5D36
	v_mul_f32_e32 v55, v55, v175                               // 00000000D504: 0A6F5F37
	v_mul_f32_e64 v52, v52, s6                                 // 00000000D508: D1050034 00000D34
	v_mul_f32_e64 v53, v53, s6                                 // 00000000D510: D1050035 00000D35
	v_mul_f32_e64 v54, v54, s6                                 // 00000000D518: D1050036 00000D36
	v_mul_f32_e64 v55, v55, s6                                 // 00000000D520: D1050037 00000D37
	v_exp_f32_e32 v52, v52                                     // 00000000D528: 7E684134
	v_exp_f32_e32 v53, v53                                     // 00000000D52C: 7E6A4135
	v_exp_f32_e32 v54, v54                                     // 00000000D530: 7E6C4136
	v_exp_f32_e32 v55, v55                                     // 00000000D534: 7E6E4137
	v_add_f32_e64 v52, v52, 1.0                                // 00000000D538: D1010034 0001E534
	v_add_f32_e64 v53, v53, 1.0                                // 00000000D540: D1010035 0001E535
	v_add_f32_e64 v54, v54, 1.0                                // 00000000D548: D1010036 0001E536
	v_add_f32_e64 v55, v55, 1.0                                // 00000000D550: D1010037 0001E537
	v_rcp_f32_e32 v52, v52                                     // 00000000D558: 7E684534
	v_rcp_f32_e32 v53, v53                                     // 00000000D55C: 7E6A4535
	v_rcp_f32_e32 v54, v54                                     // 00000000D560: 7E6C4536
	v_rcp_f32_e32 v55, v55                                     // 00000000D564: 7E6E4537
	v_mul_f32_e32 v172, v172, v52                              // 00000000D568: 0B5869AC
	v_mul_f32_e32 v173, v173, v53                              // 00000000D56C: 0B5A6BAD
	v_mul_f32_e32 v174, v174, v54                              // 00000000D570: 0B5C6DAE
	v_mul_f32_e32 v175, v175, v55                              // 00000000D574: 0B5E6FAF
	v_mul_f32_e32 v172, v172, v108                             // 00000000D578: 0B58D9AC
	v_mul_f32_e32 v173, v173, v109                             // 00000000D57C: 0B5ADBAD
	v_mul_f32_e32 v174, v174, v110                             // 00000000D580: 0B5CDDAE
	v_mul_f32_e32 v175, v175, v111                             // 00000000D584: 0B5EDFAF
	s_waitcnt vmcnt(14)                                        // 00000000D588: BF8C0F7E
	buffer_load_dwordx4 a[112:115], v42, s[12:15], 0 offen     // 00000000D58C: E05C1000 8083702A
	v_mul_f32_e32 v52, v176, v176                              // 00000000D594: 0A6961B0
	v_mul_f32_e32 v53, v177, v177                              // 00000000D598: 0A6B63B1
	v_mul_f32_e32 v54, v178, v178                              // 00000000D59C: 0A6D65B2
	v_mul_f32_e32 v55, v179, v179                              // 00000000D5A0: 0A6F67B3
	v_fma_f32 v52, v52, s77, v1                                // 00000000D5A4: D1CB0034 04049B34
	v_fma_f32 v53, v53, s77, v1                                // 00000000D5AC: D1CB0035 04049B35
	v_fma_f32 v54, v54, s77, v1                                // 00000000D5B4: D1CB0036 04049B36
	v_fma_f32 v55, v55, s77, v1                                // 00000000D5BC: D1CB0037 04049B37
	v_mul_f32_e32 v52, v52, v176                               // 00000000D5C4: 0A696134
	v_mul_f32_e32 v53, v53, v177                               // 00000000D5C8: 0A6B6335
	v_mul_f32_e32 v54, v54, v178                               // 00000000D5CC: 0A6D6536
	v_mul_f32_e32 v55, v55, v179                               // 00000000D5D0: 0A6F6737
	v_mul_f32_e64 v52, v52, s6                                 // 00000000D5D4: D1050034 00000D34
	v_mul_f32_e64 v53, v53, s6                                 // 00000000D5DC: D1050035 00000D35
	v_mul_f32_e64 v54, v54, s6                                 // 00000000D5E4: D1050036 00000D36
	v_mul_f32_e64 v55, v55, s6                                 // 00000000D5EC: D1050037 00000D37
	v_exp_f32_e32 v52, v52                                     // 00000000D5F4: 7E684134
	v_exp_f32_e32 v53, v53                                     // 00000000D5F8: 7E6A4135
	v_exp_f32_e32 v54, v54                                     // 00000000D5FC: 7E6C4136
	v_exp_f32_e32 v55, v55                                     // 00000000D600: 7E6E4137
	v_add_f32_e64 v52, v52, 1.0                                // 00000000D604: D1010034 0001E534
	v_add_f32_e64 v53, v53, 1.0                                // 00000000D60C: D1010035 0001E535
	v_add_f32_e64 v54, v54, 1.0                                // 00000000D614: D1010036 0001E536
	v_add_f32_e64 v55, v55, 1.0                                // 00000000D61C: D1010037 0001E537
	v_rcp_f32_e32 v52, v52                                     // 00000000D624: 7E684534
	v_rcp_f32_e32 v53, v53                                     // 00000000D628: 7E6A4535
	v_rcp_f32_e32 v54, v54                                     // 00000000D62C: 7E6C4536
	v_rcp_f32_e32 v55, v55                                     // 00000000D630: 7E6E4537
	v_mul_f32_e32 v176, v176, v52                              // 00000000D634: 0B6069B0
	v_mul_f32_e32 v177, v177, v53                              // 00000000D638: 0B626BB1
	v_mul_f32_e32 v178, v178, v54                              // 00000000D63C: 0B646DB2
	v_mul_f32_e32 v179, v179, v55                              // 00000000D640: 0B666FB3
	v_mul_f32_e32 v176, v176, v112                             // 00000000D644: 0B60E1B0
	v_mul_f32_e32 v177, v177, v113                             // 00000000D648: 0B62E3B1
	v_mul_f32_e32 v178, v178, v114                             // 00000000D64C: 0B64E5B2
	v_mul_f32_e32 v179, v179, v115                             // 00000000D650: 0B66E7B3
	buffer_load_dwordx4 a[116:119], v43, s[12:15], 0 offen     // 00000000D654: E05C1000 8083742B
	v_mul_f32_e32 v52, v180, v180                              // 00000000D65C: 0A6969B4
	v_mul_f32_e32 v53, v181, v181                              // 00000000D660: 0A6B6BB5
	v_mul_f32_e32 v54, v182, v182                              // 00000000D664: 0A6D6DB6
	v_mul_f32_e32 v55, v183, v183                              // 00000000D668: 0A6F6FB7
	v_fma_f32 v52, v52, s77, v1                                // 00000000D66C: D1CB0034 04049B34
	v_fma_f32 v53, v53, s77, v1                                // 00000000D674: D1CB0035 04049B35
	v_fma_f32 v54, v54, s77, v1                                // 00000000D67C: D1CB0036 04049B36
	v_fma_f32 v55, v55, s77, v1                                // 00000000D684: D1CB0037 04049B37
	v_mul_f32_e32 v52, v52, v180                               // 00000000D68C: 0A696934
	v_mul_f32_e32 v53, v53, v181                               // 00000000D690: 0A6B6B35
	v_mul_f32_e32 v54, v54, v182                               // 00000000D694: 0A6D6D36
	v_mul_f32_e32 v55, v55, v183                               // 00000000D698: 0A6F6F37
	v_mul_f32_e64 v52, v52, s6                                 // 00000000D69C: D1050034 00000D34
	v_mul_f32_e64 v53, v53, s6                                 // 00000000D6A4: D1050035 00000D35
	v_mul_f32_e64 v54, v54, s6                                 // 00000000D6AC: D1050036 00000D36
	v_mul_f32_e64 v55, v55, s6                                 // 00000000D6B4: D1050037 00000D37
	v_exp_f32_e32 v52, v52                                     // 00000000D6BC: 7E684134
	v_exp_f32_e32 v53, v53                                     // 00000000D6C0: 7E6A4135
	v_exp_f32_e32 v54, v54                                     // 00000000D6C4: 7E6C4136
	v_exp_f32_e32 v55, v55                                     // 00000000D6C8: 7E6E4137
	v_add_f32_e64 v52, v52, 1.0                                // 00000000D6CC: D1010034 0001E534
	v_add_f32_e64 v53, v53, 1.0                                // 00000000D6D4: D1010035 0001E535
	v_add_f32_e64 v54, v54, 1.0                                // 00000000D6DC: D1010036 0001E536
	v_add_f32_e64 v55, v55, 1.0                                // 00000000D6E4: D1010037 0001E537
	v_rcp_f32_e32 v52, v52                                     // 00000000D6EC: 7E684534
	v_rcp_f32_e32 v53, v53                                     // 00000000D6F0: 7E6A4535
	v_rcp_f32_e32 v54, v54                                     // 00000000D6F4: 7E6C4536
	v_rcp_f32_e32 v55, v55                                     // 00000000D6F8: 7E6E4537
	v_mul_f32_e32 v180, v180, v52                              // 00000000D6FC: 0B6869B4
	v_mul_f32_e32 v181, v181, v53                              // 00000000D700: 0B6A6BB5
	v_mul_f32_e32 v182, v182, v54                              // 00000000D704: 0B6C6DB6
	v_mul_f32_e32 v183, v183, v55                              // 00000000D708: 0B6E6FB7
	v_mul_f32_e32 v180, v180, v116                             // 00000000D70C: 0B68E9B4
	v_mul_f32_e32 v181, v181, v117                             // 00000000D710: 0B6AEBB5
	v_mul_f32_e32 v182, v182, v118                             // 00000000D714: 0B6CEDB6
	v_mul_f32_e32 v183, v183, v119                             // 00000000D718: 0B6EEFB7
	s_waitcnt vmcnt(14)                                        // 00000000D71C: BF8C0F7E
	buffer_load_dwordx4 a[120:123], v44, s[12:15], 0 offen     // 00000000D720: E05C1000 8083782C
	v_mul_f32_e32 v52, v184, v184                              // 00000000D728: 0A6971B8
	v_mul_f32_e32 v53, v185, v185                              // 00000000D72C: 0A6B73B9
	v_mul_f32_e32 v54, v186, v186                              // 00000000D730: 0A6D75BA
	v_mul_f32_e32 v55, v187, v187                              // 00000000D734: 0A6F77BB
	v_fma_f32 v52, v52, s77, v1                                // 00000000D738: D1CB0034 04049B34
	v_fma_f32 v53, v53, s77, v1                                // 00000000D740: D1CB0035 04049B35
	v_fma_f32 v54, v54, s77, v1                                // 00000000D748: D1CB0036 04049B36
	v_fma_f32 v55, v55, s77, v1                                // 00000000D750: D1CB0037 04049B37
	v_mul_f32_e32 v52, v52, v184                               // 00000000D758: 0A697134
	v_mul_f32_e32 v53, v53, v185                               // 00000000D75C: 0A6B7335
	v_mul_f32_e32 v54, v54, v186                               // 00000000D760: 0A6D7536
	v_mul_f32_e32 v55, v55, v187                               // 00000000D764: 0A6F7737
	v_mul_f32_e64 v52, v52, s6                                 // 00000000D768: D1050034 00000D34
	v_mul_f32_e64 v53, v53, s6                                 // 00000000D770: D1050035 00000D35
	v_mul_f32_e64 v54, v54, s6                                 // 00000000D778: D1050036 00000D36
	v_mul_f32_e64 v55, v55, s6                                 // 00000000D780: D1050037 00000D37
	v_exp_f32_e32 v52, v52                                     // 00000000D788: 7E684134
	v_exp_f32_e32 v53, v53                                     // 00000000D78C: 7E6A4135
	v_exp_f32_e32 v54, v54                                     // 00000000D790: 7E6C4136
	v_exp_f32_e32 v55, v55                                     // 00000000D794: 7E6E4137
	v_add_f32_e64 v52, v52, 1.0                                // 00000000D798: D1010034 0001E534
	v_add_f32_e64 v53, v53, 1.0                                // 00000000D7A0: D1010035 0001E535
	v_add_f32_e64 v54, v54, 1.0                                // 00000000D7A8: D1010036 0001E536
	v_add_f32_e64 v55, v55, 1.0                                // 00000000D7B0: D1010037 0001E537
	v_rcp_f32_e32 v52, v52                                     // 00000000D7B8: 7E684534
	v_rcp_f32_e32 v53, v53                                     // 00000000D7BC: 7E6A4535
	v_rcp_f32_e32 v54, v54                                     // 00000000D7C0: 7E6C4536
	v_rcp_f32_e32 v55, v55                                     // 00000000D7C4: 7E6E4537
	v_mul_f32_e32 v184, v184, v52                              // 00000000D7C8: 0B7069B8
	v_mul_f32_e32 v185, v185, v53                              // 00000000D7CC: 0B726BB9
	v_mul_f32_e32 v186, v186, v54                              // 00000000D7D0: 0B746DBA
	v_mul_f32_e32 v187, v187, v55                              // 00000000D7D4: 0B766FBB
	v_mul_f32_e32 v184, v184, v120                             // 00000000D7D8: 0B70F1B8
	v_mul_f32_e32 v185, v185, v121                             // 00000000D7DC: 0B72F3B9
	v_mul_f32_e32 v186, v186, v122                             // 00000000D7E0: 0B74F5BA
	v_mul_f32_e32 v187, v187, v123                             // 00000000D7E4: 0B76F7BB
	buffer_load_dwordx4 a[124:127], v45, s[12:15], 0 offen     // 00000000D7E8: E05C1000 80837C2D
	v_mul_f32_e32 v52, v188, v188                              // 00000000D7F0: 0A6979BC
	v_mul_f32_e32 v53, v189, v189                              // 00000000D7F4: 0A6B7BBD
	v_mul_f32_e32 v54, v190, v190                              // 00000000D7F8: 0A6D7DBE
	v_mul_f32_e32 v55, v191, v191                              // 00000000D7FC: 0A6F7FBF
	v_fma_f32 v52, v52, s77, v1                                // 00000000D800: D1CB0034 04049B34
	v_fma_f32 v53, v53, s77, v1                                // 00000000D808: D1CB0035 04049B35
	v_fma_f32 v54, v54, s77, v1                                // 00000000D810: D1CB0036 04049B36
	v_fma_f32 v55, v55, s77, v1                                // 00000000D818: D1CB0037 04049B37
	v_mul_f32_e32 v52, v52, v188                               // 00000000D820: 0A697934
	v_mul_f32_e32 v53, v53, v189                               // 00000000D824: 0A6B7B35
	v_mul_f32_e32 v54, v54, v190                               // 00000000D828: 0A6D7D36
	v_mul_f32_e32 v55, v55, v191                               // 00000000D82C: 0A6F7F37
	v_mul_f32_e64 v52, v52, s6                                 // 00000000D830: D1050034 00000D34
	v_mul_f32_e64 v53, v53, s6                                 // 00000000D838: D1050035 00000D35
	v_mul_f32_e64 v54, v54, s6                                 // 00000000D840: D1050036 00000D36
	v_mul_f32_e64 v55, v55, s6                                 // 00000000D848: D1050037 00000D37
	v_exp_f32_e32 v52, v52                                     // 00000000D850: 7E684134
	v_exp_f32_e32 v53, v53                                     // 00000000D854: 7E6A4135
	v_exp_f32_e32 v54, v54                                     // 00000000D858: 7E6C4136
	v_exp_f32_e32 v55, v55                                     // 00000000D85C: 7E6E4137
	v_add_f32_e64 v52, v52, 1.0                                // 00000000D860: D1010034 0001E534
	v_add_f32_e64 v53, v53, 1.0                                // 00000000D868: D1010035 0001E535
	v_add_f32_e64 v54, v54, 1.0                                // 00000000D870: D1010036 0001E536
	v_add_f32_e64 v55, v55, 1.0                                // 00000000D878: D1010037 0001E537
	v_rcp_f32_e32 v52, v52                                     // 00000000D880: 7E684534
	v_rcp_f32_e32 v53, v53                                     // 00000000D884: 7E6A4535
	v_rcp_f32_e32 v54, v54                                     // 00000000D888: 7E6C4536
	v_rcp_f32_e32 v55, v55                                     // 00000000D88C: 7E6E4537
	v_mul_f32_e32 v188, v188, v52                              // 00000000D890: 0B7869BC
	v_mul_f32_e32 v189, v189, v53                              // 00000000D894: 0B7A6BBD
	v_mul_f32_e32 v190, v190, v54                              // 00000000D898: 0B7C6DBE
	v_mul_f32_e32 v191, v191, v55                              // 00000000D89C: 0B7E6FBF
	v_mul_f32_e32 v188, v188, v124                             // 00000000D8A0: 0B78F9BC
	v_mul_f32_e32 v189, v189, v125                             // 00000000D8A4: 0B7AFBBD
	v_mul_f32_e32 v190, v190, v126                             // 00000000D8A8: 0B7CFDBE
	v_mul_f32_e32 v191, v191, v127                             // 00000000D8AC: 0B7EFFBF
	v_lshlrev_b32_e32 v52, 2, v0                               // 00000000D8B0: 24680082
	s_mul_i32 s60, s82, s71                                    // 00000000D8B4: 923C4752
	v_add_u32_e64 v80, v52, s60                                // 00000000D8B8: D1340050 00007934
	v_mov_b32_e32 v81, 0                                       // 00000000D8C0: 7EA20280
	s_mul_i32 s60, s83, s71                                    // 00000000D8C4: 923C4753
	v_add_u32_e64 v82, v52, s60                                // 00000000D8C8: D1340052 00007934
	v_mov_b32_e32 v83, 0                                       // 00000000D8D0: 7EA60280
	s_mul_i32 s60, s84, s71                                    // 00000000D8D4: 923C4754
	v_add_u32_e64 v84, v52, s60                                // 00000000D8D8: D1340054 00007934
	v_mov_b32_e32 v85, 0                                       // 00000000D8E0: 7EAA0280
	s_mul_i32 s60, s85, s71                                    // 00000000D8E4: 923C4755
	v_add_u32_e64 v86, v52, s60                                // 00000000D8E8: D1340056 00007934
	v_mov_b32_e32 v87, 0                                       // 00000000D8F0: 7EAE0280
	s_mul_i32 s60, s86, s71                                    // 00000000D8F4: 923C4756
	v_add_u32_e64 v88, v52, s60                                // 00000000D8F8: D1340058 00007934
	v_mov_b32_e32 v89, 0                                       // 00000000D900: 7EB20280
	s_mul_i32 s60, s87, s71                                    // 00000000D904: 923C4757
	v_add_u32_e64 v90, v52, s60                                // 00000000D908: D134005A 00007934
	v_mov_b32_e32 v91, 0                                       // 00000000D910: 7EB60280
	s_mul_i32 s60, s88, s71                                    // 00000000D914: 923C4758
	v_add_u32_e64 v92, v52, s60                                // 00000000D918: D134005C 00007934
	v_mov_b32_e32 v93, 0                                       // 00000000D920: 7EBA0280
	s_mul_i32 s60, s89, s71                                    // 00000000D924: 923C4759
	v_add_u32_e64 v94, v52, s60                                // 00000000D928: D134005E 00007934
	v_mov_b32_e32 v95, 0                                       // 00000000D930: 7EBE0280
	buffer_load_dword v12, v5, s[16:19], 0 offen               // 00000000D934: E0501000 80040C05
	v_mov_b32_e32 v22, 0x358637bd                              // 00000000D93C: 7E2C02FF 358637BD
	v_mov_b32_e32 v23, 0x358637bd                              // 00000000D944: 7E2E02FF 358637BD
	v_max3_f32 v22, |v128|, |v129|, v22                        // 00000000D94C: D1D30316 045B0380
	v_max3_f32 v22, |v130|, |v131|, v22                        // 00000000D954: D1D30316 045B0782
	v_max3_f32 v23, |v132|, |v133|, v23                        // 00000000D95C: D1D30317 045F0B84
	v_max3_f32 v23, |v134|, |v135|, v23                        // 00000000D964: D1D30317 045F0F86
	v_max3_f32 v22, |v136|, |v137|, v22                        // 00000000D96C: D1D30316 045B1388
	v_max3_f32 v22, |v138|, |v139|, v22                        // 00000000D974: D1D30316 045B178A
	v_max3_f32 v23, |v140|, |v141|, v23                        // 00000000D97C: D1D30317 045F1B8C
	v_max3_f32 v23, |v142|, |v143|, v23                        // 00000000D984: D1D30317 045F1F8E
	v_max3_f32 v22, |v144|, |v145|, v22                        // 00000000D98C: D1D30316 045B2390
	v_max3_f32 v22, |v146|, |v147|, v22                        // 00000000D994: D1D30316 045B2792
	v_max3_f32 v23, |v148|, |v149|, v23                        // 00000000D99C: D1D30317 045F2B94
	v_max3_f32 v23, |v150|, |v151|, v23                        // 00000000D9A4: D1D30317 045F2F96
	v_max3_f32 v22, |v152|, |v153|, v22                        // 00000000D9AC: D1D30316 045B3398
	v_max3_f32 v22, |v154|, |v155|, v22                        // 00000000D9B4: D1D30316 045B379A
	v_max3_f32 v23, |v156|, |v157|, v23                        // 00000000D9BC: D1D30317 045F3B9C
	v_max3_f32 v23, |v158|, |v159|, v23                        // 00000000D9C4: D1D30317 045F3F9E
	v_max3_f32 v22, |v160|, |v161|, v22                        // 00000000D9CC: D1D30316 045B43A0
	v_max3_f32 v22, |v162|, |v163|, v22                        // 00000000D9D4: D1D30316 045B47A2
	v_max3_f32 v23, |v164|, |v165|, v23                        // 00000000D9DC: D1D30317 045F4BA4
	v_max3_f32 v23, |v166|, |v167|, v23                        // 00000000D9E4: D1D30317 045F4FA6
	v_max3_f32 v22, |v168|, |v169|, v22                        // 00000000D9EC: D1D30316 045B53A8
	v_max3_f32 v22, |v170|, |v171|, v22                        // 00000000D9F4: D1D30316 045B57AA
	v_max3_f32 v23, |v172|, |v173|, v23                        // 00000000D9FC: D1D30317 045F5BAC
	v_max3_f32 v23, |v174|, |v175|, v23                        // 00000000DA04: D1D30317 045F5FAE
	v_max3_f32 v22, |v176|, |v177|, v22                        // 00000000DA0C: D1D30316 045B63B0
	v_max3_f32 v22, |v178|, |v179|, v22                        // 00000000DA14: D1D30316 045B67B2
	v_max3_f32 v23, |v180|, |v181|, v23                        // 00000000DA1C: D1D30317 045F6BB4
	v_max3_f32 v23, |v182|, |v183|, v23                        // 00000000DA24: D1D30317 045F6FB6
	v_max3_f32 v22, |v184|, |v185|, v22                        // 00000000DA2C: D1D30316 045B73B8
	v_max3_f32 v22, |v186|, |v187|, v22                        // 00000000DA34: D1D30316 045B77BA
	v_max3_f32 v23, |v188|, |v189|, v23                        // 00000000DA3C: D1D30317 045F7BBC
	v_max3_f32 v23, |v190|, |v191|, v23                        // 00000000DA44: D1D30317 045F7FBE
	v_lshlrev_b32_e32 v52, 3, v0                               // 00000000DA4C: 24680083
	s_mul_i32 s60, 0x200, s7                                   // 00000000DA50: 923C07FF 00000200
	v_add_u32_e32 v52, s60, v52                                // 00000000DA58: 6868683C
	ds_write_b64 v52, v[22:23] offset:16640                    // 00000000DA5C: D89A4100 00001634
	s_waitcnt lgkmcnt(0)                                       // 00000000DA64: BF8CC07F
	s_barrier                                                  // 00000000DA68: BF8A0000
	v_and_b32_e32 v52, 15, v0                                  // 00000000DA6C: 2668008F
	v_lshlrev_b32_e32 v52, 3, v52                              // 00000000DA70: 24686883
	ds_read_b64 v[96:97], v52 offset:16640                     // 00000000DA74: D8EC4100 60000034
	ds_read_b64 v[98:99], v52 offset:16768                     // 00000000DA7C: D8EC4180 62000034
	ds_read_b64 v[100:101], v52 offset:16896                   // 00000000DA84: D8EC4200 64000034
	ds_read_b64 v[102:103], v52 offset:17024                   // 00000000DA8C: D8EC4280 66000034
	ds_read_b64 v[104:105], v52 offset:17152                   // 00000000DA94: D8EC4300 68000034
	ds_read_b64 v[106:107], v52 offset:17280                   // 00000000DA9C: D8EC4380 6A000034
	ds_read_b64 v[108:109], v52 offset:17408                   // 00000000DAA4: D8EC4400 6C000034
	ds_read_b64 v[110:111], v52 offset:17536                   // 00000000DAAC: D8EC4480 6E000034
	ds_read_b64 v[112:113], v52 offset:17664                   // 00000000DAB4: D8EC4500 70000034
	ds_read_b64 v[114:115], v52 offset:17792                   // 00000000DABC: D8EC4580 72000034
	ds_read_b64 v[116:117], v52 offset:17920                   // 00000000DAC4: D8EC4600 74000034
	ds_read_b64 v[118:119], v52 offset:18048                   // 00000000DACC: D8EC4680 76000034
	ds_read_b64 v[120:121], v52 offset:18176                   // 00000000DAD4: D8EC4700 78000034
	ds_read_b64 v[122:123], v52 offset:18304                   // 00000000DADC: D8EC4780 7A000034
	ds_read_b64 v[124:125], v52 offset:18432                   // 00000000DAE4: D8EC4800 7C000034
	ds_read_b64 v[126:127], v52 offset:18560                   // 00000000DAEC: D8EC4880 7E000034
	s_waitcnt lgkmcnt(0)                                       // 00000000DAF4: BF8CC07F
	v_max3_f32 v22, |v96|, |v98|, v22                          // 00000000DAF8: D1D30316 045AC560
	v_max3_f32 v23, |v97|, |v99|, v23                          // 00000000DB00: D1D30317 045EC761
	v_max3_f32 v22, |v100|, |v102|, v22                        // 00000000DB08: D1D30316 045ACD64
	v_max3_f32 v23, |v101|, |v103|, v23                        // 00000000DB10: D1D30317 045ECF65
	v_max3_f32 v22, |v104|, |v106|, v22                        // 00000000DB18: D1D30316 045AD568
	v_max3_f32 v23, |v105|, |v107|, v23                        // 00000000DB20: D1D30317 045ED769
	v_max3_f32 v22, |v108|, |v110|, v22                        // 00000000DB28: D1D30316 045ADD6C
	v_max3_f32 v23, |v109|, |v111|, v23                        // 00000000DB30: D1D30317 045EDF6D
	v_max3_f32 v22, |v112|, |v114|, v22                        // 00000000DB38: D1D30316 045AE570
	v_max3_f32 v23, |v113|, |v115|, v23                        // 00000000DB40: D1D30317 045EE771
	v_max3_f32 v22, |v116|, |v118|, v22                        // 00000000DB48: D1D30316 045AED74
	v_max3_f32 v23, |v117|, |v119|, v23                        // 00000000DB50: D1D30317 045EEF75
	v_max3_f32 v22, |v120|, |v122|, v22                        // 00000000DB58: D1D30316 045AF578
	v_max3_f32 v23, |v121|, |v123|, v23                        // 00000000DB60: D1D30317 045EF779
	v_max3_f32 v22, |v124|, |v126|, v22                        // 00000000DB68: D1D30316 045AFD7C
	v_max3_f32 v23, |v125|, |v127|, v23                        // 00000000DB70: D1D30317 045EFF7D
	v_rcp_f32_e32 v22, v22                                     // 00000000DB78: 7E2C4516
	v_rcp_f32_e32 v23, v23                                     // 00000000DB7C: 7E2E4517
	v_mov_b32_e32 v52, 0x43700000                              // 00000000DB80: 7E6802FF 43700000
	v_mul_f32_e32 v22, v52, v22                                // 00000000DB88: 0A2C2D34
	v_mul_f32_e32 v23, v52, v23                                // 00000000DB8C: 0A2E2F34
	v_mul_f32_e32 v128, v22, v128                              // 00000000DB90: 0B010116
	v_mul_f32_e32 v129, v22, v129                              // 00000000DB94: 0B030316
	v_mul_f32_e32 v130, v22, v130                              // 00000000DB98: 0B050516
	v_mul_f32_e32 v131, v22, v131                              // 00000000DB9C: 0B070716
	v_cvt_pk_fp8_f32 v128, v128, v129                          // 00000000DBA0: D2A20080 00030380
	v_cvt_pk_fp8_f32 v128, v130, v131 op_sel:[0,0,1]           // 00000000DBA8: D2A24080 00030782
	v_mul_f32_e32 v132, v23, v132                              // 00000000DBB0: 0B090917
	v_mul_f32_e32 v133, v23, v133                              // 00000000DBB4: 0B0B0B17
	v_mul_f32_e32 v134, v23, v134                              // 00000000DBB8: 0B0D0D17
	v_mul_f32_e32 v135, v23, v135                              // 00000000DBBC: 0B0F0F17
	v_cvt_pk_fp8_f32 v129, v132, v133                          // 00000000DBC0: D2A20081 00030B84
	v_cvt_pk_fp8_f32 v129, v134, v135 op_sel:[0,0,1]           // 00000000DBC8: D2A24081 00030F86
	v_mul_f32_e32 v136, v22, v136                              // 00000000DBD0: 0B111116
	v_mul_f32_e32 v137, v22, v137                              // 00000000DBD4: 0B131316
	v_mul_f32_e32 v138, v22, v138                              // 00000000DBD8: 0B151516
	v_mul_f32_e32 v139, v22, v139                              // 00000000DBDC: 0B171716
	v_cvt_pk_fp8_f32 v130, v136, v137                          // 00000000DBE0: D2A20082 00031388
	v_cvt_pk_fp8_f32 v130, v138, v139 op_sel:[0,0,1]           // 00000000DBE8: D2A24082 0003178A
	v_mul_f32_e32 v140, v23, v140                              // 00000000DBF0: 0B191917
	v_mul_f32_e32 v141, v23, v141                              // 00000000DBF4: 0B1B1B17
	v_mul_f32_e32 v142, v23, v142                              // 00000000DBF8: 0B1D1D17
	v_mul_f32_e32 v143, v23, v143                              // 00000000DBFC: 0B1F1F17
	v_cvt_pk_fp8_f32 v131, v140, v141                          // 00000000DC00: D2A20083 00031B8C
	v_cvt_pk_fp8_f32 v131, v142, v143 op_sel:[0,0,1]           // 00000000DC08: D2A24083 00031F8E
	v_mul_f32_e32 v144, v22, v144                              // 00000000DC10: 0B212116
	v_mul_f32_e32 v145, v22, v145                              // 00000000DC14: 0B232316
	v_mul_f32_e32 v146, v22, v146                              // 00000000DC18: 0B252516
	v_mul_f32_e32 v147, v22, v147                              // 00000000DC1C: 0B272716
	v_cvt_pk_fp8_f32 v132, v144, v145                          // 00000000DC20: D2A20084 00032390
	v_cvt_pk_fp8_f32 v132, v146, v147 op_sel:[0,0,1]           // 00000000DC28: D2A24084 00032792
	v_mul_f32_e32 v148, v23, v148                              // 00000000DC30: 0B292917
	v_mul_f32_e32 v149, v23, v149                              // 00000000DC34: 0B2B2B17
	v_mul_f32_e32 v150, v23, v150                              // 00000000DC38: 0B2D2D17
	v_mul_f32_e32 v151, v23, v151                              // 00000000DC3C: 0B2F2F17
	v_cvt_pk_fp8_f32 v133, v148, v149                          // 00000000DC40: D2A20085 00032B94
	v_cvt_pk_fp8_f32 v133, v150, v151 op_sel:[0,0,1]           // 00000000DC48: D2A24085 00032F96
	v_mul_f32_e32 v152, v22, v152                              // 00000000DC50: 0B313116
	v_mul_f32_e32 v153, v22, v153                              // 00000000DC54: 0B333316
	v_mul_f32_e32 v154, v22, v154                              // 00000000DC58: 0B353516
	v_mul_f32_e32 v155, v22, v155                              // 00000000DC5C: 0B373716
	v_cvt_pk_fp8_f32 v134, v152, v153                          // 00000000DC60: D2A20086 00033398
	v_cvt_pk_fp8_f32 v134, v154, v155 op_sel:[0,0,1]           // 00000000DC68: D2A24086 0003379A
	v_mul_f32_e32 v156, v23, v156                              // 00000000DC70: 0B393917
	v_mul_f32_e32 v157, v23, v157                              // 00000000DC74: 0B3B3B17
	v_mul_f32_e32 v158, v23, v158                              // 00000000DC78: 0B3D3D17
	v_mul_f32_e32 v159, v23, v159                              // 00000000DC7C: 0B3F3F17
	v_cvt_pk_fp8_f32 v135, v156, v157                          // 00000000DC80: D2A20087 00033B9C
	v_cvt_pk_fp8_f32 v135, v158, v159 op_sel:[0,0,1]           // 00000000DC88: D2A24087 00033F9E
	v_mul_f32_e32 v160, v22, v160                              // 00000000DC90: 0B414116
	v_mul_f32_e32 v161, v22, v161                              // 00000000DC94: 0B434316
	v_mul_f32_e32 v162, v22, v162                              // 00000000DC98: 0B454516
	v_mul_f32_e32 v163, v22, v163                              // 00000000DC9C: 0B474716
	v_cvt_pk_fp8_f32 v136, v160, v161                          // 00000000DCA0: D2A20088 000343A0
	v_cvt_pk_fp8_f32 v136, v162, v163 op_sel:[0,0,1]           // 00000000DCA8: D2A24088 000347A2
	v_mul_f32_e32 v164, v23, v164                              // 00000000DCB0: 0B494917
	v_mul_f32_e32 v165, v23, v165                              // 00000000DCB4: 0B4B4B17
	v_mul_f32_e32 v166, v23, v166                              // 00000000DCB8: 0B4D4D17
	v_mul_f32_e32 v167, v23, v167                              // 00000000DCBC: 0B4F4F17
	v_cvt_pk_fp8_f32 v137, v164, v165                          // 00000000DCC0: D2A20089 00034BA4
	v_cvt_pk_fp8_f32 v137, v166, v167 op_sel:[0,0,1]           // 00000000DCC8: D2A24089 00034FA6
	v_mul_f32_e32 v168, v22, v168                              // 00000000DCD0: 0B515116
	v_mul_f32_e32 v169, v22, v169                              // 00000000DCD4: 0B535316
	v_mul_f32_e32 v170, v22, v170                              // 00000000DCD8: 0B555516
	v_mul_f32_e32 v171, v22, v171                              // 00000000DCDC: 0B575716
	v_cvt_pk_fp8_f32 v138, v168, v169                          // 00000000DCE0: D2A2008A 000353A8
	v_cvt_pk_fp8_f32 v138, v170, v171 op_sel:[0,0,1]           // 00000000DCE8: D2A2408A 000357AA
	v_mul_f32_e32 v172, v23, v172                              // 00000000DCF0: 0B595917
	v_mul_f32_e32 v173, v23, v173                              // 00000000DCF4: 0B5B5B17
	v_mul_f32_e32 v174, v23, v174                              // 00000000DCF8: 0B5D5D17
	v_mul_f32_e32 v175, v23, v175                              // 00000000DCFC: 0B5F5F17
	v_cvt_pk_fp8_f32 v139, v172, v173                          // 00000000DD00: D2A2008B 00035BAC
	v_cvt_pk_fp8_f32 v139, v174, v175 op_sel:[0,0,1]           // 00000000DD08: D2A2408B 00035FAE
	v_mul_f32_e32 v176, v22, v176                              // 00000000DD10: 0B616116
	v_mul_f32_e32 v177, v22, v177                              // 00000000DD14: 0B636316
	v_mul_f32_e32 v178, v22, v178                              // 00000000DD18: 0B656516
	v_mul_f32_e32 v179, v22, v179                              // 00000000DD1C: 0B676716
	v_cvt_pk_fp8_f32 v140, v176, v177                          // 00000000DD20: D2A2008C 000363B0
	v_cvt_pk_fp8_f32 v140, v178, v179 op_sel:[0,0,1]           // 00000000DD28: D2A2408C 000367B2
	v_mul_f32_e32 v180, v23, v180                              // 00000000DD30: 0B696917
	v_mul_f32_e32 v181, v23, v181                              // 00000000DD34: 0B6B6B17
	v_mul_f32_e32 v182, v23, v182                              // 00000000DD38: 0B6D6D17
	v_mul_f32_e32 v183, v23, v183                              // 00000000DD3C: 0B6F6F17
	v_cvt_pk_fp8_f32 v141, v180, v181                          // 00000000DD40: D2A2008D 00036BB4
	v_cvt_pk_fp8_f32 v141, v182, v183 op_sel:[0,0,1]           // 00000000DD48: D2A2408D 00036FB6
	v_mul_f32_e32 v184, v22, v184                              // 00000000DD50: 0B717116
	v_mul_f32_e32 v185, v22, v185                              // 00000000DD54: 0B737316
	v_mul_f32_e32 v186, v22, v186                              // 00000000DD58: 0B757516
	v_mul_f32_e32 v187, v22, v187                              // 00000000DD5C: 0B777716
	v_cvt_pk_fp8_f32 v142, v184, v185                          // 00000000DD60: D2A2008E 000373B8
	v_cvt_pk_fp8_f32 v142, v186, v187 op_sel:[0,0,1]           // 00000000DD68: D2A2408E 000377BA
	v_mul_f32_e32 v188, v23, v188                              // 00000000DD70: 0B797917
	v_mul_f32_e32 v189, v23, v189                              // 00000000DD74: 0B7B7B17
	v_mul_f32_e32 v190, v23, v190                              // 00000000DD78: 0B7D7D17
	v_mul_f32_e32 v191, v23, v191                              // 00000000DD7C: 0B7F7F17
	v_cvt_pk_fp8_f32 v143, v188, v189                          // 00000000DD80: D2A2008F 00037BBC
	v_cvt_pk_fp8_f32 v143, v190, v191 op_sel:[0,0,1]           // 00000000DD88: D2A2408F 00037FBE
	v_rcp_f32_e32 v24, v22                                     // 00000000DD90: 7E304516
	v_rcp_f32_e32 v25, v23                                     // 00000000DD94: 7E324517
	v_lshrrev_b32_e32 v52, 5, v0                               // 00000000DD98: 20680085
	v_lshlrev_b32_e32 v53, 5, v52                              // 00000000DD9C: 246A6885
	v_and_b32_e32 v52, 31, v0                                  // 00000000DDA0: 2668009F
	v_lshrrev_b32_e32 v54, 4, v52                              // 00000000DDA4: 206C6884
	v_add_u32_e32 v53, v54, v53                                // 00000000DDA8: 686A6B36
	v_and_b32_e32 v52, 15, v0                                  // 00000000DDAC: 2668008F
	v_lshlrev_b32_e32 v52, 1, v52                              // 00000000DDB0: 24686881
	v_add_u32_e32 v53, v52, v53                                // 00000000DDB4: 686A6B34
	v_lshlrev_b32_e32 v52, 2, v53                              // 00000000DDB8: 24686A82
	s_mul_i32 s60, 0x100, s7                                   // 00000000DDBC: 923C07FF 00000100
	v_add_u32_e64 v52, v52, s60                                // 00000000DDC4: D1340034 00007934
	ds_write_b32 v52, v128 offset:18688                        // 00000000DDCC: D81A4900 00008034
	ds_write_b32 v52, v129 offset:26880                        // 00000000DDD4: D81A6900 00008134
	ds_write_b32 v52, v130 offset:19712                        // 00000000DDDC: D81A4D00 00008234
	ds_write_b32 v52, v131 offset:27904                        // 00000000DDE4: D81A6D00 00008334
	ds_write_b32 v52, v132 offset:20736                        // 00000000DDEC: D81A5100 00008434
	ds_write_b32 v52, v133 offset:28928                        // 00000000DDF4: D81A7100 00008534
	ds_write_b32 v52, v134 offset:21760                        // 00000000DDFC: D81A5500 00008634
	ds_write_b32 v52, v135 offset:29952                        // 00000000DE04: D81A7500 00008734
	ds_write_b32 v52, v136 offset:22784                        // 00000000DE0C: D81A5900 00008834
	ds_write_b32 v52, v137 offset:30976                        // 00000000DE14: D81A7900 00008934
	ds_write_b32 v52, v138 offset:23808                        // 00000000DE1C: D81A5D00 00008A34
	ds_write_b32 v52, v139 offset:32000                        // 00000000DE24: D81A7D00 00008B34
	ds_write_b32 v52, v140 offset:24832                        // 00000000DE2C: D81A6100 00008C34
	ds_write_b32 v52, v141 offset:33024                        // 00000000DE34: D81A8100 00008D34
	ds_write_b32 v52, v142 offset:25856                        // 00000000DE3C: D81A6500 00008E34
	ds_write_b32 v52, v143 offset:34048                        // 00000000DE44: D81A8500 00008F34
	s_waitcnt lgkmcnt(0)                                       // 00000000DE4C: BF8CC07F
	s_barrier                                                  // 00000000DE50: BF8A0000
	v_lshrrev_b32_e32 v52, 4, v0                               // 00000000DE54: 20680084
	v_lshlrev_b32_e32 v53, 7, v52                              // 00000000DE58: 246A6887
	v_and_b32_e32 v52, 15, v0                                  // 00000000DE5C: 2668008F
	v_lshlrev_b32_e32 v52, 1, v52                              // 00000000DE60: 24686881
	v_add_u32_e32 v53, v52, v53                                // 00000000DE64: 686A6B34
	v_lshlrev_b32_e32 v52, 2, v53                              // 00000000DE68: 24686A82
	ds_read_b64 v[128:129], v52 offset:18688                   // 00000000DE6C: D8EC4900 80000034
	ds_read_b64 v[130:131], v52 offset:18816                   // 00000000DE74: D8EC4980 82000034
	ds_read_b64 v[132:133], v52 offset:18944                   // 00000000DE7C: D8EC4A00 84000034
	ds_read_b64 v[134:135], v52 offset:19072                   // 00000000DE84: D8EC4A80 86000034
	ds_read_b64 v[136:137], v52 offset:20736                   // 00000000DE8C: D8EC5100 88000034
	ds_read_b64 v[138:139], v52 offset:20864                   // 00000000DE94: D8EC5180 8A000034
	ds_read_b64 v[140:141], v52 offset:20992                   // 00000000DE9C: D8EC5200 8C000034
	ds_read_b64 v[142:143], v52 offset:21120                   // 00000000DEA4: D8EC5280 8E000034
	ds_read_b64 v[144:145], v52 offset:22784                   // 00000000DEAC: D8EC5900 90000034
	ds_read_b64 v[146:147], v52 offset:22912                   // 00000000DEB4: D8EC5980 92000034
	ds_read_b64 v[148:149], v52 offset:23040                   // 00000000DEBC: D8EC5A00 94000034
	ds_read_b64 v[150:151], v52 offset:23168                   // 00000000DEC4: D8EC5A80 96000034
	ds_read_b64 v[152:153], v52 offset:24832                   // 00000000DECC: D8EC6100 98000034
	ds_read_b64 v[154:155], v52 offset:24960                   // 00000000DED4: D8EC6180 9A000034
	ds_read_b64 v[156:157], v52 offset:25088                   // 00000000DEDC: D8EC6200 9C000034
	ds_read_b64 v[158:159], v52 offset:25216                   // 00000000DEE4: D8EC6280 9E000034
	ds_read_b64 v[160:161], v52 offset:26880                   // 00000000DEEC: D8EC6900 A0000034
	ds_read_b64 v[162:163], v52 offset:27008                   // 00000000DEF4: D8EC6980 A2000034
	ds_read_b64 v[164:165], v52 offset:27136                   // 00000000DEFC: D8EC6A00 A4000034
	ds_read_b64 v[166:167], v52 offset:27264                   // 00000000DF04: D8EC6A80 A6000034
	ds_read_b64 v[168:169], v52 offset:28928                   // 00000000DF0C: D8EC7100 A8000034
	ds_read_b64 v[170:171], v52 offset:29056                   // 00000000DF14: D8EC7180 AA000034
	ds_read_b64 v[172:173], v52 offset:29184                   // 00000000DF1C: D8EC7200 AC000034
	ds_read_b64 v[174:175], v52 offset:29312                   // 00000000DF24: D8EC7280 AE000034
	ds_read_b64 v[176:177], v52 offset:30976                   // 00000000DF2C: D8EC7900 B0000034
	ds_read_b64 v[178:179], v52 offset:31104                   // 00000000DF34: D8EC7980 B2000034
	ds_read_b64 v[180:181], v52 offset:31232                   // 00000000DF3C: D8EC7A00 B4000034
	ds_read_b64 v[182:183], v52 offset:31360                   // 00000000DF44: D8EC7A80 B6000034
	ds_read_b64 v[184:185], v52 offset:33024                   // 00000000DF4C: D8EC8100 B8000034
	ds_read_b64 v[186:187], v52 offset:33152                   // 00000000DF54: D8EC8180 BA000034
	ds_read_b64 v[188:189], v52 offset:33280                   // 00000000DF5C: D8EC8200 BC000034
	ds_read_b64 v[190:191], v52 offset:33408                   // 00000000DF64: D8EC8280 BE000034
	s_add_u32 s12, s56, s12                                    // 00000000DF6C: 800C0C38
	s_addc_u32 s13, 0, s13                                     // 00000000DF70: 820D0D80
	s_add_u32 s16, s79, s16                                    // 00000000DF74: 8010104F
	s_addc_u32 s17, 0, s17                                     // 00000000DF78: 82111180
	s_mov_b32 s80, 0                                           // 00000000DF7C: BED00080
	s_waitcnt vmcnt(0) expcnt(0) lgkmcnt(0)                    // 00000000DF80: BF8C0000

000000000000df84 <label_2D21>:
	s_waitcnt vmcnt(29)                                        // 00000000DF84: BF8C4F7D
	s_barrier                                                  // 00000000DF88: BF8A0000
	v_accvgpr_read_b32 v52, a64                                // 00000000DF8C: D3D84034 18000140
	v_cvt_off_f32_i4_e32 v53, v52                              // 00000000DF94: 7E6A1D34
	v_cvt_off_f32_i4_sdwa v54, v52 dst_sel:DWORD dst_unused:UNUSED_PRESERVE src0_sel:BYTE_2// 00000000DF98: 7E6C1CF9 00021634
	v_cvt_pk_fp8_f32 v56, v53, v54                             // 00000000DFA0: D2A20038 00026D35
	v_cvt_off_f32_i4_sdwa v53, v52 dst_sel:DWORD dst_unused:UNUSED_PRESERVE src0_sel:BYTE_1// 00000000DFA8: 7E6A1CF9 00011634
	v_cvt_off_f32_i4_sdwa v54, v52 dst_sel:DWORD dst_unused:UNUSED_PRESERVE src0_sel:BYTE_3// 00000000DFB0: 7E6C1CF9 00031634
	v_cvt_pk_fp8_f32 v57, v53, v54                             // 00000000DFB8: D2A20039 00026D35
	v_lshrrev_b32_e32 v55, 4, v52                              // 00000000DFC0: 206E6884
	v_cvt_off_f32_i4_e32 v53, v55                              // 00000000DFC4: 7E6A1D37
	v_cvt_off_f32_i4_sdwa v54, v55 dst_sel:DWORD dst_unused:UNUSED_PRESERVE src0_sel:BYTE_2// 00000000DFC8: 7E6C1CF9 00021637
	v_cvt_pk_fp8_f32 v56, v53, v54 op_sel:[0,0,1]              // 00000000DFD0: D2A24038 00026D35
	v_cvt_off_f32_i4_sdwa v53, v55 dst_sel:DWORD dst_unused:UNUSED_PRESERVE src0_sel:BYTE_1// 00000000DFD8: 7E6A1CF9 00011637
	v_cvt_off_f32_i4_sdwa v54, v55 dst_sel:DWORD dst_unused:UNUSED_PRESERVE src0_sel:BYTE_3// 00000000DFE0: 7E6C1CF9 00031637
	v_cvt_pk_fp8_f32 v57, v53, v54 op_sel:[0,0,1]              // 00000000DFE8: D2A24039 00026D35
	v_accvgpr_write_b32 a0, v56                                // 00000000DFF0: D3D94000 18000138
	v_accvgpr_write_b32 a1, v57                                // 00000000DFF8: D3D94001 18000139
	s_nop 3                                                    // 00000000E000: BF800003
	v_mfma_f32_16x16x32_fp8_fp8 v[192:195], a[0:1], v[128:129], 0// 00000000E004: D3F300C0 0A030100
	v_accvgpr_read_b32 v52, a65                                // 00000000E00C: D3D84034 18000141
	v_cvt_off_f32_i4_e32 v53, v52                              // 00000000E014: 7E6A1D34
	v_cvt_off_f32_i4_sdwa v54, v52 dst_sel:DWORD dst_unused:UNUSED_PRESERVE src0_sel:BYTE_2// 00000000E018: 7E6C1CF9 00021634
	v_cvt_pk_fp8_f32 v56, v53, v54                             // 00000000E020: D2A20038 00026D35
	v_cvt_off_f32_i4_sdwa v53, v52 dst_sel:DWORD dst_unused:UNUSED_PRESERVE src0_sel:BYTE_1// 00000000E028: 7E6A1CF9 00011634
	v_cvt_off_f32_i4_sdwa v54, v52 dst_sel:DWORD dst_unused:UNUSED_PRESERVE src0_sel:BYTE_3// 00000000E030: 7E6C1CF9 00031634
	v_cvt_pk_fp8_f32 v57, v53, v54                             // 00000000E038: D2A20039 00026D35
	v_lshrrev_b32_e32 v55, 4, v52                              // 00000000E040: 206E6884
	v_cvt_off_f32_i4_e32 v53, v55                              // 00000000E044: 7E6A1D37
	v_cvt_off_f32_i4_sdwa v54, v55 dst_sel:DWORD dst_unused:UNUSED_PRESERVE src0_sel:BYTE_2// 00000000E048: 7E6C1CF9 00021637
	v_cvt_pk_fp8_f32 v56, v53, v54 op_sel:[0,0,1]              // 00000000E050: D2A24038 00026D35
	v_cvt_off_f32_i4_sdwa v53, v55 dst_sel:DWORD dst_unused:UNUSED_PRESERVE src0_sel:BYTE_1// 00000000E058: 7E6A1CF9 00011637
	v_cvt_off_f32_i4_sdwa v54, v55 dst_sel:DWORD dst_unused:UNUSED_PRESERVE src0_sel:BYTE_3// 00000000E060: 7E6C1CF9 00031637
	v_cvt_pk_fp8_f32 v57, v53, v54 op_sel:[0,0,1]              // 00000000E068: D2A24039 00026D35
	v_accvgpr_write_b32 a2, v56                                // 00000000E070: D3D94002 18000138
	v_accvgpr_write_b32 a3, v57                                // 00000000E078: D3D94003 18000139
	s_nop 3                                                    // 00000000E080: BF800003
	v_mfma_f32_16x16x32_fp8_fp8 v[192:195], a[2:3], v[130:131], v[192:195]// 00000000E084: D3F300C0 0F030502
	buffer_load_dwordx4 a[192:195], v42, s[12:15], 0 offen     // 00000000E08C: E05C1000 8083C02A
	v_accvgpr_read_b32 v52, a66                                // 00000000E094: D3D84034 18000142
	v_cvt_off_f32_i4_e32 v53, v52                              // 00000000E09C: 7E6A1D34
	v_cvt_off_f32_i4_sdwa v54, v52 dst_sel:DWORD dst_unused:UNUSED_PRESERVE src0_sel:BYTE_2// 00000000E0A0: 7E6C1CF9 00021634
	v_cvt_pk_fp8_f32 v56, v53, v54                             // 00000000E0A8: D2A20038 00026D35
	v_cvt_off_f32_i4_sdwa v53, v52 dst_sel:DWORD dst_unused:UNUSED_PRESERVE src0_sel:BYTE_1// 00000000E0B0: 7E6A1CF9 00011634
	v_cvt_off_f32_i4_sdwa v54, v52 dst_sel:DWORD dst_unused:UNUSED_PRESERVE src0_sel:BYTE_3// 00000000E0B8: 7E6C1CF9 00031634
	v_cvt_pk_fp8_f32 v57, v53, v54                             // 00000000E0C0: D2A20039 00026D35
	v_lshrrev_b32_e32 v55, 4, v52                              // 00000000E0C8: 206E6884
	v_cvt_off_f32_i4_e32 v53, v55                              // 00000000E0CC: 7E6A1D37
	v_cvt_off_f32_i4_sdwa v54, v55 dst_sel:DWORD dst_unused:UNUSED_PRESERVE src0_sel:BYTE_2// 00000000E0D0: 7E6C1CF9 00021637
	v_cvt_pk_fp8_f32 v56, v53, v54 op_sel:[0,0,1]              // 00000000E0D8: D2A24038 00026D35
	v_cvt_off_f32_i4_sdwa v53, v55 dst_sel:DWORD dst_unused:UNUSED_PRESERVE src0_sel:BYTE_1// 00000000E0E0: 7E6A1CF9 00011637
	v_cvt_off_f32_i4_sdwa v54, v55 dst_sel:DWORD dst_unused:UNUSED_PRESERVE src0_sel:BYTE_3// 00000000E0E8: 7E6C1CF9 00031637
	v_cvt_pk_fp8_f32 v57, v53, v54 op_sel:[0,0,1]              // 00000000E0F0: D2A24039 00026D35
	v_accvgpr_write_b32 a4, v56                                // 00000000E0F8: D3D94004 18000138
	v_accvgpr_write_b32 a5, v57                                // 00000000E100: D3D94005 18000139
	s_nop 3                                                    // 00000000E108: BF800003
	v_mfma_f32_16x16x32_fp8_fp8 v[192:195], a[4:5], v[132:133], v[192:195]// 00000000E10C: D3F300C0 0F030904
	v_accvgpr_read_b32 v52, a67                                // 00000000E114: D3D84034 18000143
	v_cvt_off_f32_i4_e32 v53, v52                              // 00000000E11C: 7E6A1D34
	v_cvt_off_f32_i4_sdwa v54, v52 dst_sel:DWORD dst_unused:UNUSED_PRESERVE src0_sel:BYTE_2// 00000000E120: 7E6C1CF9 00021634
	v_cvt_pk_fp8_f32 v56, v53, v54                             // 00000000E128: D2A20038 00026D35
	v_cvt_off_f32_i4_sdwa v53, v52 dst_sel:DWORD dst_unused:UNUSED_PRESERVE src0_sel:BYTE_1// 00000000E130: 7E6A1CF9 00011634
	v_cvt_off_f32_i4_sdwa v54, v52 dst_sel:DWORD dst_unused:UNUSED_PRESERVE src0_sel:BYTE_3// 00000000E138: 7E6C1CF9 00031634
	v_cvt_pk_fp8_f32 v57, v53, v54                             // 00000000E140: D2A20039 00026D35
	v_lshrrev_b32_e32 v55, 4, v52                              // 00000000E148: 206E6884
	v_cvt_off_f32_i4_e32 v53, v55                              // 00000000E14C: 7E6A1D37
	v_cvt_off_f32_i4_sdwa v54, v55 dst_sel:DWORD dst_unused:UNUSED_PRESERVE src0_sel:BYTE_2// 00000000E150: 7E6C1CF9 00021637
	v_cvt_pk_fp8_f32 v56, v53, v54 op_sel:[0,0,1]              // 00000000E158: D2A24038 00026D35
	v_cvt_off_f32_i4_sdwa v53, v55 dst_sel:DWORD dst_unused:UNUSED_PRESERVE src0_sel:BYTE_1// 00000000E160: 7E6A1CF9 00011637
	v_cvt_off_f32_i4_sdwa v54, v55 dst_sel:DWORD dst_unused:UNUSED_PRESERVE src0_sel:BYTE_3// 00000000E168: 7E6C1CF9 00031637
	v_cvt_pk_fp8_f32 v57, v53, v54 op_sel:[0,0,1]              // 00000000E170: D2A24039 00026D35
	v_accvgpr_write_b32 a6, v56                                // 00000000E178: D3D94006 18000138
	v_accvgpr_write_b32 a7, v57                                // 00000000E180: D3D94007 18000139
	s_nop 3                                                    // 00000000E188: BF800003
	v_mfma_f32_16x16x32_fp8_fp8 v[192:195], a[6:7], v[134:135], v[192:195]// 00000000E18C: D3F300C0 0F030D06
	v_mfma_f32_16x16x32_fp8_fp8 v[196:199], a[0:1], v[160:161], 0// 00000000E194: D3F300C4 0A034100
	v_mfma_f32_16x16x32_fp8_fp8 v[196:199], a[2:3], v[162:163], v[196:199]// 00000000E19C: D3F300C4 0F134502
	v_mfma_f32_16x16x32_fp8_fp8 v[196:199], a[4:5], v[164:165], v[196:199]// 00000000E1A4: D3F300C4 0F134904
	v_mfma_f32_16x16x32_fp8_fp8 v[196:199], a[6:7], v[166:167], v[196:199]// 00000000E1AC: D3F300C4 0F134D06
	v_accvgpr_read_b32 v52, a68                                // 00000000E1B4: D3D84034 18000144
	v_cvt_off_f32_i4_e32 v53, v52                              // 00000000E1BC: 7E6A1D34
	v_cvt_off_f32_i4_sdwa v54, v52 dst_sel:DWORD dst_unused:UNUSED_PRESERVE src0_sel:BYTE_2// 00000000E1C0: 7E6C1CF9 00021634
	v_cvt_pk_fp8_f32 v56, v53, v54                             // 00000000E1C8: D2A20038 00026D35
	v_cvt_off_f32_i4_sdwa v53, v52 dst_sel:DWORD dst_unused:UNUSED_PRESERVE src0_sel:BYTE_1// 00000000E1D0: 7E6A1CF9 00011634
	v_cvt_off_f32_i4_sdwa v54, v52 dst_sel:DWORD dst_unused:UNUSED_PRESERVE src0_sel:BYTE_3// 00000000E1D8: 7E6C1CF9 00031634
	v_cvt_pk_fp8_f32 v57, v53, v54                             // 00000000E1E0: D2A20039 00026D35
	v_lshrrev_b32_e32 v55, 4, v52                              // 00000000E1E8: 206E6884
	v_cvt_off_f32_i4_e32 v53, v55                              // 00000000E1EC: 7E6A1D37
	v_cvt_off_f32_i4_sdwa v54, v55 dst_sel:DWORD dst_unused:UNUSED_PRESERVE src0_sel:BYTE_2// 00000000E1F0: 7E6C1CF9 00021637
	v_cvt_pk_fp8_f32 v56, v53, v54 op_sel:[0,0,1]              // 00000000E1F8: D2A24038 00026D35
	v_cvt_off_f32_i4_sdwa v53, v55 dst_sel:DWORD dst_unused:UNUSED_PRESERVE src0_sel:BYTE_1// 00000000E200: 7E6A1CF9 00011637
	v_cvt_off_f32_i4_sdwa v54, v55 dst_sel:DWORD dst_unused:UNUSED_PRESERVE src0_sel:BYTE_3// 00000000E208: 7E6C1CF9 00031637
	v_cvt_pk_fp8_f32 v57, v53, v54 op_sel:[0,0,1]              // 00000000E210: D2A24039 00026D35
	v_accvgpr_write_b32 a8, v56                                // 00000000E218: D3D94008 18000138
	v_accvgpr_write_b32 a9, v57                                // 00000000E220: D3D94009 18000139
	s_nop 3                                                    // 00000000E228: BF800003
	v_mfma_f32_16x16x32_fp8_fp8 v[200:203], a[8:9], v[128:129], 0// 00000000E22C: D3F300C8 0A030108
	v_accvgpr_read_b32 v52, a69                                // 00000000E234: D3D84034 18000145
	v_cvt_off_f32_i4_e32 v53, v52                              // 00000000E23C: 7E6A1D34
	v_cvt_off_f32_i4_sdwa v54, v52 dst_sel:DWORD dst_unused:UNUSED_PRESERVE src0_sel:BYTE_2// 00000000E240: 7E6C1CF9 00021634
	v_cvt_pk_fp8_f32 v56, v53, v54                             // 00000000E248: D2A20038 00026D35
	v_cvt_off_f32_i4_sdwa v53, v52 dst_sel:DWORD dst_unused:UNUSED_PRESERVE src0_sel:BYTE_1// 00000000E250: 7E6A1CF9 00011634
	v_cvt_off_f32_i4_sdwa v54, v52 dst_sel:DWORD dst_unused:UNUSED_PRESERVE src0_sel:BYTE_3// 00000000E258: 7E6C1CF9 00031634
	v_cvt_pk_fp8_f32 v57, v53, v54                             // 00000000E260: D2A20039 00026D35
	v_lshrrev_b32_e32 v55, 4, v52                              // 00000000E268: 206E6884
	v_cvt_off_f32_i4_e32 v53, v55                              // 00000000E26C: 7E6A1D37
	v_cvt_off_f32_i4_sdwa v54, v55 dst_sel:DWORD dst_unused:UNUSED_PRESERVE src0_sel:BYTE_2// 00000000E270: 7E6C1CF9 00021637
	v_cvt_pk_fp8_f32 v56, v53, v54 op_sel:[0,0,1]              // 00000000E278: D2A24038 00026D35
	v_cvt_off_f32_i4_sdwa v53, v55 dst_sel:DWORD dst_unused:UNUSED_PRESERVE src0_sel:BYTE_1// 00000000E280: 7E6A1CF9 00011637
	v_cvt_off_f32_i4_sdwa v54, v55 dst_sel:DWORD dst_unused:UNUSED_PRESERVE src0_sel:BYTE_3// 00000000E288: 7E6C1CF9 00031637
	v_cvt_pk_fp8_f32 v57, v53, v54 op_sel:[0,0,1]              // 00000000E290: D2A24039 00026D35
	v_accvgpr_write_b32 a10, v56                               // 00000000E298: D3D9400A 18000138
	v_accvgpr_write_b32 a11, v57                               // 00000000E2A0: D3D9400B 18000139
	s_nop 3                                                    // 00000000E2A8: BF800003
	v_mfma_f32_16x16x32_fp8_fp8 v[200:203], a[10:11], v[130:131], v[200:203]// 00000000E2AC: D3F300C8 0F23050A
	buffer_load_dwordx4 a[196:199], v43, s[12:15], 0 offen     // 00000000E2B4: E05C1000 8083C42B
	v_accvgpr_read_b32 v52, a70                                // 00000000E2BC: D3D84034 18000146
	v_cvt_off_f32_i4_e32 v53, v52                              // 00000000E2C4: 7E6A1D34
	v_cvt_off_f32_i4_sdwa v54, v52 dst_sel:DWORD dst_unused:UNUSED_PRESERVE src0_sel:BYTE_2// 00000000E2C8: 7E6C1CF9 00021634
	v_cvt_pk_fp8_f32 v56, v53, v54                             // 00000000E2D0: D2A20038 00026D35
	v_cvt_off_f32_i4_sdwa v53, v52 dst_sel:DWORD dst_unused:UNUSED_PRESERVE src0_sel:BYTE_1// 00000000E2D8: 7E6A1CF9 00011634
	v_cvt_off_f32_i4_sdwa v54, v52 dst_sel:DWORD dst_unused:UNUSED_PRESERVE src0_sel:BYTE_3// 00000000E2E0: 7E6C1CF9 00031634
	v_cvt_pk_fp8_f32 v57, v53, v54                             // 00000000E2E8: D2A20039 00026D35
	v_lshrrev_b32_e32 v55, 4, v52                              // 00000000E2F0: 206E6884
	v_cvt_off_f32_i4_e32 v53, v55                              // 00000000E2F4: 7E6A1D37
	v_cvt_off_f32_i4_sdwa v54, v55 dst_sel:DWORD dst_unused:UNUSED_PRESERVE src0_sel:BYTE_2// 00000000E2F8: 7E6C1CF9 00021637
	v_cvt_pk_fp8_f32 v56, v53, v54 op_sel:[0,0,1]              // 00000000E300: D2A24038 00026D35
	v_cvt_off_f32_i4_sdwa v53, v55 dst_sel:DWORD dst_unused:UNUSED_PRESERVE src0_sel:BYTE_1// 00000000E308: 7E6A1CF9 00011637
	v_cvt_off_f32_i4_sdwa v54, v55 dst_sel:DWORD dst_unused:UNUSED_PRESERVE src0_sel:BYTE_3// 00000000E310: 7E6C1CF9 00031637
	v_cvt_pk_fp8_f32 v57, v53, v54 op_sel:[0,0,1]              // 00000000E318: D2A24039 00026D35
	v_accvgpr_write_b32 a12, v56                               // 00000000E320: D3D9400C 18000138
	v_accvgpr_write_b32 a13, v57                               // 00000000E328: D3D9400D 18000139
	s_nop 3                                                    // 00000000E330: BF800003
	v_mfma_f32_16x16x32_fp8_fp8 v[200:203], a[12:13], v[132:133], v[200:203]// 00000000E334: D3F300C8 0F23090C
	v_accvgpr_read_b32 v52, a71                                // 00000000E33C: D3D84034 18000147
	v_cvt_off_f32_i4_e32 v53, v52                              // 00000000E344: 7E6A1D34
	v_cvt_off_f32_i4_sdwa v54, v52 dst_sel:DWORD dst_unused:UNUSED_PRESERVE src0_sel:BYTE_2// 00000000E348: 7E6C1CF9 00021634
	v_cvt_pk_fp8_f32 v56, v53, v54                             // 00000000E350: D2A20038 00026D35
	v_cvt_off_f32_i4_sdwa v53, v52 dst_sel:DWORD dst_unused:UNUSED_PRESERVE src0_sel:BYTE_1// 00000000E358: 7E6A1CF9 00011634
	v_cvt_off_f32_i4_sdwa v54, v52 dst_sel:DWORD dst_unused:UNUSED_PRESERVE src0_sel:BYTE_3// 00000000E360: 7E6C1CF9 00031634
	v_cvt_pk_fp8_f32 v57, v53, v54                             // 00000000E368: D2A20039 00026D35
	v_lshrrev_b32_e32 v55, 4, v52                              // 00000000E370: 206E6884
	v_cvt_off_f32_i4_e32 v53, v55                              // 00000000E374: 7E6A1D37
	v_cvt_off_f32_i4_sdwa v54, v55 dst_sel:DWORD dst_unused:UNUSED_PRESERVE src0_sel:BYTE_2// 00000000E378: 7E6C1CF9 00021637
	v_cvt_pk_fp8_f32 v56, v53, v54 op_sel:[0,0,1]              // 00000000E380: D2A24038 00026D35
	v_cvt_off_f32_i4_sdwa v53, v55 dst_sel:DWORD dst_unused:UNUSED_PRESERVE src0_sel:BYTE_1// 00000000E388: 7E6A1CF9 00011637
	v_cvt_off_f32_i4_sdwa v54, v55 dst_sel:DWORD dst_unused:UNUSED_PRESERVE src0_sel:BYTE_3// 00000000E390: 7E6C1CF9 00031637
	v_cvt_pk_fp8_f32 v57, v53, v54 op_sel:[0,0,1]              // 00000000E398: D2A24039 00026D35
	v_accvgpr_write_b32 a14, v56                               // 00000000E3A0: D3D9400E 18000138
	v_accvgpr_write_b32 a15, v57                               // 00000000E3A8: D3D9400F 18000139
	s_nop 3                                                    // 00000000E3B0: BF800003
	v_mfma_f32_16x16x32_fp8_fp8 v[200:203], a[14:15], v[134:135], v[200:203]// 00000000E3B4: D3F300C8 0F230D0E
	v_mfma_f32_16x16x32_fp8_fp8 v[204:207], a[8:9], v[160:161], 0// 00000000E3BC: D3F300CC 0A034108
	v_mfma_f32_16x16x32_fp8_fp8 v[204:207], a[10:11], v[162:163], v[204:207]// 00000000E3C4: D3F300CC 0F33450A
	v_mfma_f32_16x16x32_fp8_fp8 v[204:207], a[12:13], v[164:165], v[204:207]// 00000000E3CC: D3F300CC 0F33490C
	v_mfma_f32_16x16x32_fp8_fp8 v[204:207], a[14:15], v[166:167], v[204:207]// 00000000E3D4: D3F300CC 0F334D0E
	v_accvgpr_read_b32 v52, a72                                // 00000000E3DC: D3D84034 18000148
	v_cvt_off_f32_i4_e32 v53, v52                              // 00000000E3E4: 7E6A1D34
	v_cvt_off_f32_i4_sdwa v54, v52 dst_sel:DWORD dst_unused:UNUSED_PRESERVE src0_sel:BYTE_2// 00000000E3E8: 7E6C1CF9 00021634
	v_cvt_pk_fp8_f32 v56, v53, v54                             // 00000000E3F0: D2A20038 00026D35
	v_cvt_off_f32_i4_sdwa v53, v52 dst_sel:DWORD dst_unused:UNUSED_PRESERVE src0_sel:BYTE_1// 00000000E3F8: 7E6A1CF9 00011634
	v_cvt_off_f32_i4_sdwa v54, v52 dst_sel:DWORD dst_unused:UNUSED_PRESERVE src0_sel:BYTE_3// 00000000E400: 7E6C1CF9 00031634
	v_cvt_pk_fp8_f32 v57, v53, v54                             // 00000000E408: D2A20039 00026D35
	v_lshrrev_b32_e32 v55, 4, v52                              // 00000000E410: 206E6884
	v_cvt_off_f32_i4_e32 v53, v55                              // 00000000E414: 7E6A1D37
	v_cvt_off_f32_i4_sdwa v54, v55 dst_sel:DWORD dst_unused:UNUSED_PRESERVE src0_sel:BYTE_2// 00000000E418: 7E6C1CF9 00021637
	v_cvt_pk_fp8_f32 v56, v53, v54 op_sel:[0,0,1]              // 00000000E420: D2A24038 00026D35
	v_cvt_off_f32_i4_sdwa v53, v55 dst_sel:DWORD dst_unused:UNUSED_PRESERVE src0_sel:BYTE_1// 00000000E428: 7E6A1CF9 00011637
	v_cvt_off_f32_i4_sdwa v54, v55 dst_sel:DWORD dst_unused:UNUSED_PRESERVE src0_sel:BYTE_3// 00000000E430: 7E6C1CF9 00031637
	v_cvt_pk_fp8_f32 v57, v53, v54 op_sel:[0,0,1]              // 00000000E438: D2A24039 00026D35
	v_accvgpr_write_b32 a16, v56                               // 00000000E440: D3D94010 18000138
	v_accvgpr_write_b32 a17, v57                               // 00000000E448: D3D94011 18000139
	s_nop 3                                                    // 00000000E450: BF800003
	v_mfma_f32_16x16x32_fp8_fp8 v[208:211], a[16:17], v[128:129], 0// 00000000E454: D3F300D0 0A030110
	v_accvgpr_read_b32 v52, a73                                // 00000000E45C: D3D84034 18000149
	v_cvt_off_f32_i4_e32 v53, v52                              // 00000000E464: 7E6A1D34
	v_cvt_off_f32_i4_sdwa v54, v52 dst_sel:DWORD dst_unused:UNUSED_PRESERVE src0_sel:BYTE_2// 00000000E468: 7E6C1CF9 00021634
	v_cvt_pk_fp8_f32 v56, v53, v54                             // 00000000E470: D2A20038 00026D35
	v_cvt_off_f32_i4_sdwa v53, v52 dst_sel:DWORD dst_unused:UNUSED_PRESERVE src0_sel:BYTE_1// 00000000E478: 7E6A1CF9 00011634
	v_cvt_off_f32_i4_sdwa v54, v52 dst_sel:DWORD dst_unused:UNUSED_PRESERVE src0_sel:BYTE_3// 00000000E480: 7E6C1CF9 00031634
	v_cvt_pk_fp8_f32 v57, v53, v54                             // 00000000E488: D2A20039 00026D35
	v_lshrrev_b32_e32 v55, 4, v52                              // 00000000E490: 206E6884
	v_cvt_off_f32_i4_e32 v53, v55                              // 00000000E494: 7E6A1D37
	v_cvt_off_f32_i4_sdwa v54, v55 dst_sel:DWORD dst_unused:UNUSED_PRESERVE src0_sel:BYTE_2// 00000000E498: 7E6C1CF9 00021637
	v_cvt_pk_fp8_f32 v56, v53, v54 op_sel:[0,0,1]              // 00000000E4A0: D2A24038 00026D35
	v_cvt_off_f32_i4_sdwa v53, v55 dst_sel:DWORD dst_unused:UNUSED_PRESERVE src0_sel:BYTE_1// 00000000E4A8: 7E6A1CF9 00011637
	v_cvt_off_f32_i4_sdwa v54, v55 dst_sel:DWORD dst_unused:UNUSED_PRESERVE src0_sel:BYTE_3// 00000000E4B0: 7E6C1CF9 00031637
	v_cvt_pk_fp8_f32 v57, v53, v54 op_sel:[0,0,1]              // 00000000E4B8: D2A24039 00026D35
	v_accvgpr_write_b32 a18, v56                               // 00000000E4C0: D3D94012 18000138
	v_accvgpr_write_b32 a19, v57                               // 00000000E4C8: D3D94013 18000139
	s_nop 3                                                    // 00000000E4D0: BF800003
	v_mfma_f32_16x16x32_fp8_fp8 v[208:211], a[18:19], v[130:131], v[208:211]// 00000000E4D4: D3F300D0 0F430512
	buffer_load_dwordx4 a[200:203], v44, s[12:15], 0 offen     // 00000000E4DC: E05C1000 8083C82C
	v_accvgpr_read_b32 v52, a74                                // 00000000E4E4: D3D84034 1800014A
	v_cvt_off_f32_i4_e32 v53, v52                              // 00000000E4EC: 7E6A1D34
	v_cvt_off_f32_i4_sdwa v54, v52 dst_sel:DWORD dst_unused:UNUSED_PRESERVE src0_sel:BYTE_2// 00000000E4F0: 7E6C1CF9 00021634
	v_cvt_pk_fp8_f32 v56, v53, v54                             // 00000000E4F8: D2A20038 00026D35
	v_cvt_off_f32_i4_sdwa v53, v52 dst_sel:DWORD dst_unused:UNUSED_PRESERVE src0_sel:BYTE_1// 00000000E500: 7E6A1CF9 00011634
	v_cvt_off_f32_i4_sdwa v54, v52 dst_sel:DWORD dst_unused:UNUSED_PRESERVE src0_sel:BYTE_3// 00000000E508: 7E6C1CF9 00031634
	v_cvt_pk_fp8_f32 v57, v53, v54                             // 00000000E510: D2A20039 00026D35
	v_lshrrev_b32_e32 v55, 4, v52                              // 00000000E518: 206E6884
	v_cvt_off_f32_i4_e32 v53, v55                              // 00000000E51C: 7E6A1D37
	v_cvt_off_f32_i4_sdwa v54, v55 dst_sel:DWORD dst_unused:UNUSED_PRESERVE src0_sel:BYTE_2// 00000000E520: 7E6C1CF9 00021637
	v_cvt_pk_fp8_f32 v56, v53, v54 op_sel:[0,0,1]              // 00000000E528: D2A24038 00026D35
	v_cvt_off_f32_i4_sdwa v53, v55 dst_sel:DWORD dst_unused:UNUSED_PRESERVE src0_sel:BYTE_1// 00000000E530: 7E6A1CF9 00011637
	v_cvt_off_f32_i4_sdwa v54, v55 dst_sel:DWORD dst_unused:UNUSED_PRESERVE src0_sel:BYTE_3// 00000000E538: 7E6C1CF9 00031637
	v_cvt_pk_fp8_f32 v57, v53, v54 op_sel:[0,0,1]              // 00000000E540: D2A24039 00026D35
	v_accvgpr_write_b32 a20, v56                               // 00000000E548: D3D94014 18000138
	v_accvgpr_write_b32 a21, v57                               // 00000000E550: D3D94015 18000139
	s_nop 3                                                    // 00000000E558: BF800003
	v_mfma_f32_16x16x32_fp8_fp8 v[208:211], a[20:21], v[132:133], v[208:211]// 00000000E55C: D3F300D0 0F430914
	v_accvgpr_read_b32 v52, a75                                // 00000000E564: D3D84034 1800014B
	v_cvt_off_f32_i4_e32 v53, v52                              // 00000000E56C: 7E6A1D34
	v_cvt_off_f32_i4_sdwa v54, v52 dst_sel:DWORD dst_unused:UNUSED_PRESERVE src0_sel:BYTE_2// 00000000E570: 7E6C1CF9 00021634
	v_cvt_pk_fp8_f32 v56, v53, v54                             // 00000000E578: D2A20038 00026D35
	v_cvt_off_f32_i4_sdwa v53, v52 dst_sel:DWORD dst_unused:UNUSED_PRESERVE src0_sel:BYTE_1// 00000000E580: 7E6A1CF9 00011634
	v_cvt_off_f32_i4_sdwa v54, v52 dst_sel:DWORD dst_unused:UNUSED_PRESERVE src0_sel:BYTE_3// 00000000E588: 7E6C1CF9 00031634
	v_cvt_pk_fp8_f32 v57, v53, v54                             // 00000000E590: D2A20039 00026D35
	v_lshrrev_b32_e32 v55, 4, v52                              // 00000000E598: 206E6884
	v_cvt_off_f32_i4_e32 v53, v55                              // 00000000E59C: 7E6A1D37
	v_cvt_off_f32_i4_sdwa v54, v55 dst_sel:DWORD dst_unused:UNUSED_PRESERVE src0_sel:BYTE_2// 00000000E5A0: 7E6C1CF9 00021637
	v_cvt_pk_fp8_f32 v56, v53, v54 op_sel:[0,0,1]              // 00000000E5A8: D2A24038 00026D35
	v_cvt_off_f32_i4_sdwa v53, v55 dst_sel:DWORD dst_unused:UNUSED_PRESERVE src0_sel:BYTE_1// 00000000E5B0: 7E6A1CF9 00011637
	v_cvt_off_f32_i4_sdwa v54, v55 dst_sel:DWORD dst_unused:UNUSED_PRESERVE src0_sel:BYTE_3// 00000000E5B8: 7E6C1CF9 00031637
	v_cvt_pk_fp8_f32 v57, v53, v54 op_sel:[0,0,1]              // 00000000E5C0: D2A24039 00026D35
	v_accvgpr_write_b32 a22, v56                               // 00000000E5C8: D3D94016 18000138
	v_accvgpr_write_b32 a23, v57                               // 00000000E5D0: D3D94017 18000139
	s_nop 3                                                    // 00000000E5D8: BF800003
	v_mfma_f32_16x16x32_fp8_fp8 v[208:211], a[22:23], v[134:135], v[208:211]// 00000000E5DC: D3F300D0 0F430D16
	v_mfma_f32_16x16x32_fp8_fp8 v[212:215], a[16:17], v[160:161], 0// 00000000E5E4: D3F300D4 0A034110
	v_mfma_f32_16x16x32_fp8_fp8 v[212:215], a[18:19], v[162:163], v[212:215]// 00000000E5EC: D3F300D4 0F534512
	v_mfma_f32_16x16x32_fp8_fp8 v[212:215], a[20:21], v[164:165], v[212:215]// 00000000E5F4: D3F300D4 0F534914
	v_mfma_f32_16x16x32_fp8_fp8 v[212:215], a[22:23], v[166:167], v[212:215]// 00000000E5FC: D3F300D4 0F534D16
	v_accvgpr_read_b32 v52, a76                                // 00000000E604: D3D84034 1800014C
	v_cvt_off_f32_i4_e32 v53, v52                              // 00000000E60C: 7E6A1D34
	v_cvt_off_f32_i4_sdwa v54, v52 dst_sel:DWORD dst_unused:UNUSED_PRESERVE src0_sel:BYTE_2// 00000000E610: 7E6C1CF9 00021634
	v_cvt_pk_fp8_f32 v56, v53, v54                             // 00000000E618: D2A20038 00026D35
	v_cvt_off_f32_i4_sdwa v53, v52 dst_sel:DWORD dst_unused:UNUSED_PRESERVE src0_sel:BYTE_1// 00000000E620: 7E6A1CF9 00011634
	v_cvt_off_f32_i4_sdwa v54, v52 dst_sel:DWORD dst_unused:UNUSED_PRESERVE src0_sel:BYTE_3// 00000000E628: 7E6C1CF9 00031634
	v_cvt_pk_fp8_f32 v57, v53, v54                             // 00000000E630: D2A20039 00026D35
	v_lshrrev_b32_e32 v55, 4, v52                              // 00000000E638: 206E6884
	v_cvt_off_f32_i4_e32 v53, v55                              // 00000000E63C: 7E6A1D37
	v_cvt_off_f32_i4_sdwa v54, v55 dst_sel:DWORD dst_unused:UNUSED_PRESERVE src0_sel:BYTE_2// 00000000E640: 7E6C1CF9 00021637
	v_cvt_pk_fp8_f32 v56, v53, v54 op_sel:[0,0,1]              // 00000000E648: D2A24038 00026D35
	v_cvt_off_f32_i4_sdwa v53, v55 dst_sel:DWORD dst_unused:UNUSED_PRESERVE src0_sel:BYTE_1// 00000000E650: 7E6A1CF9 00011637
	v_cvt_off_f32_i4_sdwa v54, v55 dst_sel:DWORD dst_unused:UNUSED_PRESERVE src0_sel:BYTE_3// 00000000E658: 7E6C1CF9 00031637
	v_cvt_pk_fp8_f32 v57, v53, v54 op_sel:[0,0,1]              // 00000000E660: D2A24039 00026D35
	v_accvgpr_write_b32 a24, v56                               // 00000000E668: D3D94018 18000138
	v_accvgpr_write_b32 a25, v57                               // 00000000E670: D3D94019 18000139
	s_nop 3                                                    // 00000000E678: BF800003
	v_mfma_f32_16x16x32_fp8_fp8 v[216:219], a[24:25], v[128:129], 0// 00000000E67C: D3F300D8 0A030118
	v_accvgpr_read_b32 v52, a77                                // 00000000E684: D3D84034 1800014D
	v_cvt_off_f32_i4_e32 v53, v52                              // 00000000E68C: 7E6A1D34
	v_cvt_off_f32_i4_sdwa v54, v52 dst_sel:DWORD dst_unused:UNUSED_PRESERVE src0_sel:BYTE_2// 00000000E690: 7E6C1CF9 00021634
	v_cvt_pk_fp8_f32 v56, v53, v54                             // 00000000E698: D2A20038 00026D35
	v_cvt_off_f32_i4_sdwa v53, v52 dst_sel:DWORD dst_unused:UNUSED_PRESERVE src0_sel:BYTE_1// 00000000E6A0: 7E6A1CF9 00011634
	v_cvt_off_f32_i4_sdwa v54, v52 dst_sel:DWORD dst_unused:UNUSED_PRESERVE src0_sel:BYTE_3// 00000000E6A8: 7E6C1CF9 00031634
	v_cvt_pk_fp8_f32 v57, v53, v54                             // 00000000E6B0: D2A20039 00026D35
	v_lshrrev_b32_e32 v55, 4, v52                              // 00000000E6B8: 206E6884
	v_cvt_off_f32_i4_e32 v53, v55                              // 00000000E6BC: 7E6A1D37
	v_cvt_off_f32_i4_sdwa v54, v55 dst_sel:DWORD dst_unused:UNUSED_PRESERVE src0_sel:BYTE_2// 00000000E6C0: 7E6C1CF9 00021637
	v_cvt_pk_fp8_f32 v56, v53, v54 op_sel:[0,0,1]              // 00000000E6C8: D2A24038 00026D35
	v_cvt_off_f32_i4_sdwa v53, v55 dst_sel:DWORD dst_unused:UNUSED_PRESERVE src0_sel:BYTE_1// 00000000E6D0: 7E6A1CF9 00011637
	v_cvt_off_f32_i4_sdwa v54, v55 dst_sel:DWORD dst_unused:UNUSED_PRESERVE src0_sel:BYTE_3// 00000000E6D8: 7E6C1CF9 00031637
	v_cvt_pk_fp8_f32 v57, v53, v54 op_sel:[0,0,1]              // 00000000E6E0: D2A24039 00026D35
	v_accvgpr_write_b32 a26, v56                               // 00000000E6E8: D3D9401A 18000138
	v_accvgpr_write_b32 a27, v57                               // 00000000E6F0: D3D9401B 18000139
	s_nop 3                                                    // 00000000E6F8: BF800003
	v_mfma_f32_16x16x32_fp8_fp8 v[216:219], a[26:27], v[130:131], v[216:219]// 00000000E6FC: D3F300D8 0F63051A
	buffer_load_dwordx4 a[204:207], v45, s[12:15], 0 offen     // 00000000E704: E05C1000 8083CC2D
	s_add_u32 s12, s78, s12                                    // 00000000E70C: 800C0C4E
	s_addc_u32 s13, 0, s13                                     // 00000000E710: 820D0D80
	v_accvgpr_read_b32 v52, a78                                // 00000000E714: D3D84034 1800014E
	v_cvt_off_f32_i4_e32 v53, v52                              // 00000000E71C: 7E6A1D34
	v_cvt_off_f32_i4_sdwa v54, v52 dst_sel:DWORD dst_unused:UNUSED_PRESERVE src0_sel:BYTE_2// 00000000E720: 7E6C1CF9 00021634
	v_cvt_pk_fp8_f32 v56, v53, v54                             // 00000000E728: D2A20038 00026D35
	v_cvt_off_f32_i4_sdwa v53, v52 dst_sel:DWORD dst_unused:UNUSED_PRESERVE src0_sel:BYTE_1// 00000000E730: 7E6A1CF9 00011634
	v_cvt_off_f32_i4_sdwa v54, v52 dst_sel:DWORD dst_unused:UNUSED_PRESERVE src0_sel:BYTE_3// 00000000E738: 7E6C1CF9 00031634
	v_cvt_pk_fp8_f32 v57, v53, v54                             // 00000000E740: D2A20039 00026D35
	v_lshrrev_b32_e32 v55, 4, v52                              // 00000000E748: 206E6884
	v_cvt_off_f32_i4_e32 v53, v55                              // 00000000E74C: 7E6A1D37
	v_cvt_off_f32_i4_sdwa v54, v55 dst_sel:DWORD dst_unused:UNUSED_PRESERVE src0_sel:BYTE_2// 00000000E750: 7E6C1CF9 00021637
	v_cvt_pk_fp8_f32 v56, v53, v54 op_sel:[0,0,1]              // 00000000E758: D2A24038 00026D35
	v_cvt_off_f32_i4_sdwa v53, v55 dst_sel:DWORD dst_unused:UNUSED_PRESERVE src0_sel:BYTE_1// 00000000E760: 7E6A1CF9 00011637
	v_cvt_off_f32_i4_sdwa v54, v55 dst_sel:DWORD dst_unused:UNUSED_PRESERVE src0_sel:BYTE_3// 00000000E768: 7E6C1CF9 00031637
	v_cvt_pk_fp8_f32 v57, v53, v54 op_sel:[0,0,1]              // 00000000E770: D2A24039 00026D35
	v_accvgpr_write_b32 a28, v56                               // 00000000E778: D3D9401C 18000138
	v_accvgpr_write_b32 a29, v57                               // 00000000E780: D3D9401D 18000139
	s_nop 3                                                    // 00000000E788: BF800003
	v_mfma_f32_16x16x32_fp8_fp8 v[216:219], a[28:29], v[132:133], v[216:219]// 00000000E78C: D3F300D8 0F63091C
	v_accvgpr_read_b32 v52, a79                                // 00000000E794: D3D84034 1800014F
	v_cvt_off_f32_i4_e32 v53, v52                              // 00000000E79C: 7E6A1D34
	v_cvt_off_f32_i4_sdwa v54, v52 dst_sel:DWORD dst_unused:UNUSED_PRESERVE src0_sel:BYTE_2// 00000000E7A0: 7E6C1CF9 00021634
	v_cvt_pk_fp8_f32 v56, v53, v54                             // 00000000E7A8: D2A20038 00026D35
	v_cvt_off_f32_i4_sdwa v53, v52 dst_sel:DWORD dst_unused:UNUSED_PRESERVE src0_sel:BYTE_1// 00000000E7B0: 7E6A1CF9 00011634
	v_cvt_off_f32_i4_sdwa v54, v52 dst_sel:DWORD dst_unused:UNUSED_PRESERVE src0_sel:BYTE_3// 00000000E7B8: 7E6C1CF9 00031634
	v_cvt_pk_fp8_f32 v57, v53, v54                             // 00000000E7C0: D2A20039 00026D35
	v_lshrrev_b32_e32 v55, 4, v52                              // 00000000E7C8: 206E6884
	v_cvt_off_f32_i4_e32 v53, v55                              // 00000000E7CC: 7E6A1D37
	v_cvt_off_f32_i4_sdwa v54, v55 dst_sel:DWORD dst_unused:UNUSED_PRESERVE src0_sel:BYTE_2// 00000000E7D0: 7E6C1CF9 00021637
	v_cvt_pk_fp8_f32 v56, v53, v54 op_sel:[0,0,1]              // 00000000E7D8: D2A24038 00026D35
	v_cvt_off_f32_i4_sdwa v53, v55 dst_sel:DWORD dst_unused:UNUSED_PRESERVE src0_sel:BYTE_1// 00000000E7E0: 7E6A1CF9 00011637
	v_cvt_off_f32_i4_sdwa v54, v55 dst_sel:DWORD dst_unused:UNUSED_PRESERVE src0_sel:BYTE_3// 00000000E7E8: 7E6C1CF9 00031637
	v_cvt_pk_fp8_f32 v57, v53, v54 op_sel:[0,0,1]              // 00000000E7F0: D2A24039 00026D35
	v_accvgpr_write_b32 a30, v56                               // 00000000E7F8: D3D9401E 18000138
	v_accvgpr_write_b32 a31, v57                               // 00000000E800: D3D9401F 18000139
	s_nop 3                                                    // 00000000E808: BF800003
	v_mfma_f32_16x16x32_fp8_fp8 v[216:219], a[30:31], v[134:135], v[216:219]// 00000000E80C: D3F300D8 0F630D1E
	v_mfma_f32_16x16x32_fp8_fp8 v[220:223], a[24:25], v[160:161], 0// 00000000E814: D3F300DC 0A034118
	v_mfma_f32_16x16x32_fp8_fp8 v[220:223], a[26:27], v[162:163], v[220:223]// 00000000E81C: D3F300DC 0F73451A
	v_mfma_f32_16x16x32_fp8_fp8 v[220:223], a[28:29], v[164:165], v[220:223]// 00000000E824: D3F300DC 0F73491C
	v_mfma_f32_16x16x32_fp8_fp8 v[220:223], a[30:31], v[166:167], v[220:223]// 00000000E82C: D3F300DC 0F734D1E
	s_waitcnt vmcnt(29)                                        // 00000000E834: BF8C4F7D
	v_accvgpr_read_b32 v52, a80                                // 00000000E838: D3D84034 18000150
	v_cvt_off_f32_i4_e32 v53, v52                              // 00000000E840: 7E6A1D34
	v_cvt_off_f32_i4_sdwa v54, v52 dst_sel:DWORD dst_unused:UNUSED_PRESERVE src0_sel:BYTE_2// 00000000E844: 7E6C1CF9 00021634
	v_cvt_pk_fp8_f32 v56, v53, v54                             // 00000000E84C: D2A20038 00026D35
	v_cvt_off_f32_i4_sdwa v53, v52 dst_sel:DWORD dst_unused:UNUSED_PRESERVE src0_sel:BYTE_1// 00000000E854: 7E6A1CF9 00011634
	v_cvt_off_f32_i4_sdwa v54, v52 dst_sel:DWORD dst_unused:UNUSED_PRESERVE src0_sel:BYTE_3// 00000000E85C: 7E6C1CF9 00031634
	v_cvt_pk_fp8_f32 v57, v53, v54                             // 00000000E864: D2A20039 00026D35
	v_lshrrev_b32_e32 v55, 4, v52                              // 00000000E86C: 206E6884
	v_cvt_off_f32_i4_e32 v53, v55                              // 00000000E870: 7E6A1D37
	v_cvt_off_f32_i4_sdwa v54, v55 dst_sel:DWORD dst_unused:UNUSED_PRESERVE src0_sel:BYTE_2// 00000000E874: 7E6C1CF9 00021637
	v_cvt_pk_fp8_f32 v56, v53, v54 op_sel:[0,0,1]              // 00000000E87C: D2A24038 00026D35
	v_cvt_off_f32_i4_sdwa v53, v55 dst_sel:DWORD dst_unused:UNUSED_PRESERVE src0_sel:BYTE_1// 00000000E884: 7E6A1CF9 00011637
	v_cvt_off_f32_i4_sdwa v54, v55 dst_sel:DWORD dst_unused:UNUSED_PRESERVE src0_sel:BYTE_3// 00000000E88C: 7E6C1CF9 00031637
	v_cvt_pk_fp8_f32 v57, v53, v54 op_sel:[0,0,1]              // 00000000E894: D2A24039 00026D35
	v_accvgpr_write_b32 a32, v56                               // 00000000E89C: D3D94020 18000138
	v_accvgpr_write_b32 a33, v57                               // 00000000E8A4: D3D94021 18000139
	s_nop 3                                                    // 00000000E8AC: BF800003
	v_mfma_f32_16x16x32_fp8_fp8 v[192:195], a[32:33], v[136:137], v[192:195]// 00000000E8B0: D3F300C0 0F031120
	v_accvgpr_read_b32 v52, a81                                // 00000000E8B8: D3D84034 18000151
	v_cvt_off_f32_i4_e32 v53, v52                              // 00000000E8C0: 7E6A1D34
	v_cvt_off_f32_i4_sdwa v54, v52 dst_sel:DWORD dst_unused:UNUSED_PRESERVE src0_sel:BYTE_2// 00000000E8C4: 7E6C1CF9 00021634
	v_cvt_pk_fp8_f32 v56, v53, v54                             // 00000000E8CC: D2A20038 00026D35
	v_cvt_off_f32_i4_sdwa v53, v52 dst_sel:DWORD dst_unused:UNUSED_PRESERVE src0_sel:BYTE_1// 00000000E8D4: 7E6A1CF9 00011634
	v_cvt_off_f32_i4_sdwa v54, v52 dst_sel:DWORD dst_unused:UNUSED_PRESERVE src0_sel:BYTE_3// 00000000E8DC: 7E6C1CF9 00031634
	v_cvt_pk_fp8_f32 v57, v53, v54                             // 00000000E8E4: D2A20039 00026D35
	v_lshrrev_b32_e32 v55, 4, v52                              // 00000000E8EC: 206E6884
	v_cvt_off_f32_i4_e32 v53, v55                              // 00000000E8F0: 7E6A1D37
	v_cvt_off_f32_i4_sdwa v54, v55 dst_sel:DWORD dst_unused:UNUSED_PRESERVE src0_sel:BYTE_2// 00000000E8F4: 7E6C1CF9 00021637
	v_cvt_pk_fp8_f32 v56, v53, v54 op_sel:[0,0,1]              // 00000000E8FC: D2A24038 00026D35
	v_cvt_off_f32_i4_sdwa v53, v55 dst_sel:DWORD dst_unused:UNUSED_PRESERVE src0_sel:BYTE_1// 00000000E904: 7E6A1CF9 00011637
	v_cvt_off_f32_i4_sdwa v54, v55 dst_sel:DWORD dst_unused:UNUSED_PRESERVE src0_sel:BYTE_3// 00000000E90C: 7E6C1CF9 00031637
	v_cvt_pk_fp8_f32 v57, v53, v54 op_sel:[0,0,1]              // 00000000E914: D2A24039 00026D35
	v_accvgpr_write_b32 a34, v56                               // 00000000E91C: D3D94022 18000138
	v_accvgpr_write_b32 a35, v57                               // 00000000E924: D3D94023 18000139
	s_nop 3                                                    // 00000000E92C: BF800003
	v_mfma_f32_16x16x32_fp8_fp8 v[192:195], a[34:35], v[138:139], v[192:195]// 00000000E930: D3F300C0 0F031522
	buffer_load_dwordx4 a[208:211], v42, s[12:15], 0 offen     // 00000000E938: E05C1000 8083D02A
	v_accvgpr_read_b32 v52, a82                                // 00000000E940: D3D84034 18000152
	v_cvt_off_f32_i4_e32 v53, v52                              // 00000000E948: 7E6A1D34
	v_cvt_off_f32_i4_sdwa v54, v52 dst_sel:DWORD dst_unused:UNUSED_PRESERVE src0_sel:BYTE_2// 00000000E94C: 7E6C1CF9 00021634
	v_cvt_pk_fp8_f32 v56, v53, v54                             // 00000000E954: D2A20038 00026D35
	v_cvt_off_f32_i4_sdwa v53, v52 dst_sel:DWORD dst_unused:UNUSED_PRESERVE src0_sel:BYTE_1// 00000000E95C: 7E6A1CF9 00011634
	v_cvt_off_f32_i4_sdwa v54, v52 dst_sel:DWORD dst_unused:UNUSED_PRESERVE src0_sel:BYTE_3// 00000000E964: 7E6C1CF9 00031634
	v_cvt_pk_fp8_f32 v57, v53, v54                             // 00000000E96C: D2A20039 00026D35
	v_lshrrev_b32_e32 v55, 4, v52                              // 00000000E974: 206E6884
	v_cvt_off_f32_i4_e32 v53, v55                              // 00000000E978: 7E6A1D37
	v_cvt_off_f32_i4_sdwa v54, v55 dst_sel:DWORD dst_unused:UNUSED_PRESERVE src0_sel:BYTE_2// 00000000E97C: 7E6C1CF9 00021637
	v_cvt_pk_fp8_f32 v56, v53, v54 op_sel:[0,0,1]              // 00000000E984: D2A24038 00026D35
	v_cvt_off_f32_i4_sdwa v53, v55 dst_sel:DWORD dst_unused:UNUSED_PRESERVE src0_sel:BYTE_1// 00000000E98C: 7E6A1CF9 00011637
	v_cvt_off_f32_i4_sdwa v54, v55 dst_sel:DWORD dst_unused:UNUSED_PRESERVE src0_sel:BYTE_3// 00000000E994: 7E6C1CF9 00031637
	v_cvt_pk_fp8_f32 v57, v53, v54 op_sel:[0,0,1]              // 00000000E99C: D2A24039 00026D35
	v_accvgpr_write_b32 a36, v56                               // 00000000E9A4: D3D94024 18000138
	v_accvgpr_write_b32 a37, v57                               // 00000000E9AC: D3D94025 18000139
	s_nop 3                                                    // 00000000E9B4: BF800003
	v_mfma_f32_16x16x32_fp8_fp8 v[192:195], a[36:37], v[140:141], v[192:195]// 00000000E9B8: D3F300C0 0F031924
	v_accvgpr_read_b32 v52, a83                                // 00000000E9C0: D3D84034 18000153
	v_cvt_off_f32_i4_e32 v53, v52                              // 00000000E9C8: 7E6A1D34
	v_cvt_off_f32_i4_sdwa v54, v52 dst_sel:DWORD dst_unused:UNUSED_PRESERVE src0_sel:BYTE_2// 00000000E9CC: 7E6C1CF9 00021634
	v_cvt_pk_fp8_f32 v56, v53, v54                             // 00000000E9D4: D2A20038 00026D35
	v_cvt_off_f32_i4_sdwa v53, v52 dst_sel:DWORD dst_unused:UNUSED_PRESERVE src0_sel:BYTE_1// 00000000E9DC: 7E6A1CF9 00011634
	v_cvt_off_f32_i4_sdwa v54, v52 dst_sel:DWORD dst_unused:UNUSED_PRESERVE src0_sel:BYTE_3// 00000000E9E4: 7E6C1CF9 00031634
	v_cvt_pk_fp8_f32 v57, v53, v54                             // 00000000E9EC: D2A20039 00026D35
	v_lshrrev_b32_e32 v55, 4, v52                              // 00000000E9F4: 206E6884
	v_cvt_off_f32_i4_e32 v53, v55                              // 00000000E9F8: 7E6A1D37
	v_cvt_off_f32_i4_sdwa v54, v55 dst_sel:DWORD dst_unused:UNUSED_PRESERVE src0_sel:BYTE_2// 00000000E9FC: 7E6C1CF9 00021637
	v_cvt_pk_fp8_f32 v56, v53, v54 op_sel:[0,0,1]              // 00000000EA04: D2A24038 00026D35
	v_cvt_off_f32_i4_sdwa v53, v55 dst_sel:DWORD dst_unused:UNUSED_PRESERVE src0_sel:BYTE_1// 00000000EA0C: 7E6A1CF9 00011637
	v_cvt_off_f32_i4_sdwa v54, v55 dst_sel:DWORD dst_unused:UNUSED_PRESERVE src0_sel:BYTE_3// 00000000EA14: 7E6C1CF9 00031637
	v_cvt_pk_fp8_f32 v57, v53, v54 op_sel:[0,0,1]              // 00000000EA1C: D2A24039 00026D35
	v_accvgpr_write_b32 a38, v56                               // 00000000EA24: D3D94026 18000138
	v_accvgpr_write_b32 a39, v57                               // 00000000EA2C: D3D94027 18000139
	s_nop 3                                                    // 00000000EA34: BF800003
	v_mfma_f32_16x16x32_fp8_fp8 v[192:195], a[38:39], v[142:143], v[192:195]// 00000000EA38: D3F300C0 0F031D26
	v_mfma_f32_16x16x32_fp8_fp8 v[196:199], a[32:33], v[168:169], v[196:199]// 00000000EA40: D3F300C4 0F135120
	v_mfma_f32_16x16x32_fp8_fp8 v[196:199], a[34:35], v[170:171], v[196:199]// 00000000EA48: D3F300C4 0F135522
	v_mfma_f32_16x16x32_fp8_fp8 v[196:199], a[36:37], v[172:173], v[196:199]// 00000000EA50: D3F300C4 0F135924
	v_mfma_f32_16x16x32_fp8_fp8 v[196:199], a[38:39], v[174:175], v[196:199]// 00000000EA58: D3F300C4 0F135D26
	v_accvgpr_read_b32 v52, a84                                // 00000000EA60: D3D84034 18000154
	v_cvt_off_f32_i4_e32 v53, v52                              // 00000000EA68: 7E6A1D34
	v_cvt_off_f32_i4_sdwa v54, v52 dst_sel:DWORD dst_unused:UNUSED_PRESERVE src0_sel:BYTE_2// 00000000EA6C: 7E6C1CF9 00021634
	v_cvt_pk_fp8_f32 v56, v53, v54                             // 00000000EA74: D2A20038 00026D35
	v_cvt_off_f32_i4_sdwa v53, v52 dst_sel:DWORD dst_unused:UNUSED_PRESERVE src0_sel:BYTE_1// 00000000EA7C: 7E6A1CF9 00011634
	v_cvt_off_f32_i4_sdwa v54, v52 dst_sel:DWORD dst_unused:UNUSED_PRESERVE src0_sel:BYTE_3// 00000000EA84: 7E6C1CF9 00031634
	v_cvt_pk_fp8_f32 v57, v53, v54                             // 00000000EA8C: D2A20039 00026D35
	v_lshrrev_b32_e32 v55, 4, v52                              // 00000000EA94: 206E6884
	v_cvt_off_f32_i4_e32 v53, v55                              // 00000000EA98: 7E6A1D37
	v_cvt_off_f32_i4_sdwa v54, v55 dst_sel:DWORD dst_unused:UNUSED_PRESERVE src0_sel:BYTE_2// 00000000EA9C: 7E6C1CF9 00021637
	v_cvt_pk_fp8_f32 v56, v53, v54 op_sel:[0,0,1]              // 00000000EAA4: D2A24038 00026D35
	v_cvt_off_f32_i4_sdwa v53, v55 dst_sel:DWORD dst_unused:UNUSED_PRESERVE src0_sel:BYTE_1// 00000000EAAC: 7E6A1CF9 00011637
	v_cvt_off_f32_i4_sdwa v54, v55 dst_sel:DWORD dst_unused:UNUSED_PRESERVE src0_sel:BYTE_3// 00000000EAB4: 7E6C1CF9 00031637
	v_cvt_pk_fp8_f32 v57, v53, v54 op_sel:[0,0,1]              // 00000000EABC: D2A24039 00026D35
	v_accvgpr_write_b32 a40, v56                               // 00000000EAC4: D3D94028 18000138
	v_accvgpr_write_b32 a41, v57                               // 00000000EACC: D3D94029 18000139
	s_nop 3                                                    // 00000000EAD4: BF800003
	v_mfma_f32_16x16x32_fp8_fp8 v[200:203], a[40:41], v[136:137], v[200:203]// 00000000EAD8: D3F300C8 0F231128
	v_accvgpr_read_b32 v52, a85                                // 00000000EAE0: D3D84034 18000155
	v_cvt_off_f32_i4_e32 v53, v52                              // 00000000EAE8: 7E6A1D34
	v_cvt_off_f32_i4_sdwa v54, v52 dst_sel:DWORD dst_unused:UNUSED_PRESERVE src0_sel:BYTE_2// 00000000EAEC: 7E6C1CF9 00021634
	v_cvt_pk_fp8_f32 v56, v53, v54                             // 00000000EAF4: D2A20038 00026D35
	v_cvt_off_f32_i4_sdwa v53, v52 dst_sel:DWORD dst_unused:UNUSED_PRESERVE src0_sel:BYTE_1// 00000000EAFC: 7E6A1CF9 00011634
	v_cvt_off_f32_i4_sdwa v54, v52 dst_sel:DWORD dst_unused:UNUSED_PRESERVE src0_sel:BYTE_3// 00000000EB04: 7E6C1CF9 00031634
	v_cvt_pk_fp8_f32 v57, v53, v54                             // 00000000EB0C: D2A20039 00026D35
	v_lshrrev_b32_e32 v55, 4, v52                              // 00000000EB14: 206E6884
	v_cvt_off_f32_i4_e32 v53, v55                              // 00000000EB18: 7E6A1D37
	v_cvt_off_f32_i4_sdwa v54, v55 dst_sel:DWORD dst_unused:UNUSED_PRESERVE src0_sel:BYTE_2// 00000000EB1C: 7E6C1CF9 00021637
	v_cvt_pk_fp8_f32 v56, v53, v54 op_sel:[0,0,1]              // 00000000EB24: D2A24038 00026D35
	v_cvt_off_f32_i4_sdwa v53, v55 dst_sel:DWORD dst_unused:UNUSED_PRESERVE src0_sel:BYTE_1// 00000000EB2C: 7E6A1CF9 00011637
	v_cvt_off_f32_i4_sdwa v54, v55 dst_sel:DWORD dst_unused:UNUSED_PRESERVE src0_sel:BYTE_3// 00000000EB34: 7E6C1CF9 00031637
	v_cvt_pk_fp8_f32 v57, v53, v54 op_sel:[0,0,1]              // 00000000EB3C: D2A24039 00026D35
	v_accvgpr_write_b32 a42, v56                               // 00000000EB44: D3D9402A 18000138
	v_accvgpr_write_b32 a43, v57                               // 00000000EB4C: D3D9402B 18000139
	s_nop 3                                                    // 00000000EB54: BF800003
	v_mfma_f32_16x16x32_fp8_fp8 v[200:203], a[42:43], v[138:139], v[200:203]// 00000000EB58: D3F300C8 0F23152A
	buffer_load_dwordx4 a[212:215], v43, s[12:15], 0 offen     // 00000000EB60: E05C1000 8083D42B
	v_accvgpr_read_b32 v52, a86                                // 00000000EB68: D3D84034 18000156
	v_cvt_off_f32_i4_e32 v53, v52                              // 00000000EB70: 7E6A1D34
	v_cvt_off_f32_i4_sdwa v54, v52 dst_sel:DWORD dst_unused:UNUSED_PRESERVE src0_sel:BYTE_2// 00000000EB74: 7E6C1CF9 00021634
	v_cvt_pk_fp8_f32 v56, v53, v54                             // 00000000EB7C: D2A20038 00026D35
	v_cvt_off_f32_i4_sdwa v53, v52 dst_sel:DWORD dst_unused:UNUSED_PRESERVE src0_sel:BYTE_1// 00000000EB84: 7E6A1CF9 00011634
	v_cvt_off_f32_i4_sdwa v54, v52 dst_sel:DWORD dst_unused:UNUSED_PRESERVE src0_sel:BYTE_3// 00000000EB8C: 7E6C1CF9 00031634
	v_cvt_pk_fp8_f32 v57, v53, v54                             // 00000000EB94: D2A20039 00026D35
	v_lshrrev_b32_e32 v55, 4, v52                              // 00000000EB9C: 206E6884
	v_cvt_off_f32_i4_e32 v53, v55                              // 00000000EBA0: 7E6A1D37
	v_cvt_off_f32_i4_sdwa v54, v55 dst_sel:DWORD dst_unused:UNUSED_PRESERVE src0_sel:BYTE_2// 00000000EBA4: 7E6C1CF9 00021637
	v_cvt_pk_fp8_f32 v56, v53, v54 op_sel:[0,0,1]              // 00000000EBAC: D2A24038 00026D35
	v_cvt_off_f32_i4_sdwa v53, v55 dst_sel:DWORD dst_unused:UNUSED_PRESERVE src0_sel:BYTE_1// 00000000EBB4: 7E6A1CF9 00011637
	v_cvt_off_f32_i4_sdwa v54, v55 dst_sel:DWORD dst_unused:UNUSED_PRESERVE src0_sel:BYTE_3// 00000000EBBC: 7E6C1CF9 00031637
	v_cvt_pk_fp8_f32 v57, v53, v54 op_sel:[0,0,1]              // 00000000EBC4: D2A24039 00026D35
	v_accvgpr_write_b32 a44, v56                               // 00000000EBCC: D3D9402C 18000138
	v_accvgpr_write_b32 a45, v57                               // 00000000EBD4: D3D9402D 18000139
	s_nop 3                                                    // 00000000EBDC: BF800003
	v_mfma_f32_16x16x32_fp8_fp8 v[200:203], a[44:45], v[140:141], v[200:203]// 00000000EBE0: D3F300C8 0F23192C
	v_accvgpr_read_b32 v52, a87                                // 00000000EBE8: D3D84034 18000157
	v_cvt_off_f32_i4_e32 v53, v52                              // 00000000EBF0: 7E6A1D34
	v_cvt_off_f32_i4_sdwa v54, v52 dst_sel:DWORD dst_unused:UNUSED_PRESERVE src0_sel:BYTE_2// 00000000EBF4: 7E6C1CF9 00021634
	v_cvt_pk_fp8_f32 v56, v53, v54                             // 00000000EBFC: D2A20038 00026D35
	v_cvt_off_f32_i4_sdwa v53, v52 dst_sel:DWORD dst_unused:UNUSED_PRESERVE src0_sel:BYTE_1// 00000000EC04: 7E6A1CF9 00011634
	v_cvt_off_f32_i4_sdwa v54, v52 dst_sel:DWORD dst_unused:UNUSED_PRESERVE src0_sel:BYTE_3// 00000000EC0C: 7E6C1CF9 00031634
	v_cvt_pk_fp8_f32 v57, v53, v54                             // 00000000EC14: D2A20039 00026D35
	v_lshrrev_b32_e32 v55, 4, v52                              // 00000000EC1C: 206E6884
	v_cvt_off_f32_i4_e32 v53, v55                              // 00000000EC20: 7E6A1D37
	v_cvt_off_f32_i4_sdwa v54, v55 dst_sel:DWORD dst_unused:UNUSED_PRESERVE src0_sel:BYTE_2// 00000000EC24: 7E6C1CF9 00021637
	v_cvt_pk_fp8_f32 v56, v53, v54 op_sel:[0,0,1]              // 00000000EC2C: D2A24038 00026D35
	v_cvt_off_f32_i4_sdwa v53, v55 dst_sel:DWORD dst_unused:UNUSED_PRESERVE src0_sel:BYTE_1// 00000000EC34: 7E6A1CF9 00011637
	v_cvt_off_f32_i4_sdwa v54, v55 dst_sel:DWORD dst_unused:UNUSED_PRESERVE src0_sel:BYTE_3// 00000000EC3C: 7E6C1CF9 00031637
	v_cvt_pk_fp8_f32 v57, v53, v54 op_sel:[0,0,1]              // 00000000EC44: D2A24039 00026D35
	v_accvgpr_write_b32 a46, v56                               // 00000000EC4C: D3D9402E 18000138
	v_accvgpr_write_b32 a47, v57                               // 00000000EC54: D3D9402F 18000139
	s_nop 3                                                    // 00000000EC5C: BF800003
	v_mfma_f32_16x16x32_fp8_fp8 v[200:203], a[46:47], v[142:143], v[200:203]// 00000000EC60: D3F300C8 0F231D2E
	v_mfma_f32_16x16x32_fp8_fp8 v[204:207], a[40:41], v[168:169], v[204:207]// 00000000EC68: D3F300CC 0F335128
	v_mfma_f32_16x16x32_fp8_fp8 v[204:207], a[42:43], v[170:171], v[204:207]// 00000000EC70: D3F300CC 0F33552A
	v_mfma_f32_16x16x32_fp8_fp8 v[204:207], a[44:45], v[172:173], v[204:207]// 00000000EC78: D3F300CC 0F33592C
	v_mfma_f32_16x16x32_fp8_fp8 v[204:207], a[46:47], v[174:175], v[204:207]// 00000000EC80: D3F300CC 0F335D2E
	v_accvgpr_read_b32 v52, a88                                // 00000000EC88: D3D84034 18000158
	v_cvt_off_f32_i4_e32 v53, v52                              // 00000000EC90: 7E6A1D34
	v_cvt_off_f32_i4_sdwa v54, v52 dst_sel:DWORD dst_unused:UNUSED_PRESERVE src0_sel:BYTE_2// 00000000EC94: 7E6C1CF9 00021634
	v_cvt_pk_fp8_f32 v56, v53, v54                             // 00000000EC9C: D2A20038 00026D35
	v_cvt_off_f32_i4_sdwa v53, v52 dst_sel:DWORD dst_unused:UNUSED_PRESERVE src0_sel:BYTE_1// 00000000ECA4: 7E6A1CF9 00011634
	v_cvt_off_f32_i4_sdwa v54, v52 dst_sel:DWORD dst_unused:UNUSED_PRESERVE src0_sel:BYTE_3// 00000000ECAC: 7E6C1CF9 00031634
	v_cvt_pk_fp8_f32 v57, v53, v54                             // 00000000ECB4: D2A20039 00026D35
	v_lshrrev_b32_e32 v55, 4, v52                              // 00000000ECBC: 206E6884
	v_cvt_off_f32_i4_e32 v53, v55                              // 00000000ECC0: 7E6A1D37
	v_cvt_off_f32_i4_sdwa v54, v55 dst_sel:DWORD dst_unused:UNUSED_PRESERVE src0_sel:BYTE_2// 00000000ECC4: 7E6C1CF9 00021637
	v_cvt_pk_fp8_f32 v56, v53, v54 op_sel:[0,0,1]              // 00000000ECCC: D2A24038 00026D35
	v_cvt_off_f32_i4_sdwa v53, v55 dst_sel:DWORD dst_unused:UNUSED_PRESERVE src0_sel:BYTE_1// 00000000ECD4: 7E6A1CF9 00011637
	v_cvt_off_f32_i4_sdwa v54, v55 dst_sel:DWORD dst_unused:UNUSED_PRESERVE src0_sel:BYTE_3// 00000000ECDC: 7E6C1CF9 00031637
	v_cvt_pk_fp8_f32 v57, v53, v54 op_sel:[0,0,1]              // 00000000ECE4: D2A24039 00026D35
	v_accvgpr_write_b32 a48, v56                               // 00000000ECEC: D3D94030 18000138
	v_accvgpr_write_b32 a49, v57                               // 00000000ECF4: D3D94031 18000139
	s_nop 3                                                    // 00000000ECFC: BF800003
	v_mfma_f32_16x16x32_fp8_fp8 v[208:211], a[48:49], v[136:137], v[208:211]// 00000000ED00: D3F300D0 0F431130
	v_accvgpr_read_b32 v52, a89                                // 00000000ED08: D3D84034 18000159
	v_cvt_off_f32_i4_e32 v53, v52                              // 00000000ED10: 7E6A1D34
	v_cvt_off_f32_i4_sdwa v54, v52 dst_sel:DWORD dst_unused:UNUSED_PRESERVE src0_sel:BYTE_2// 00000000ED14: 7E6C1CF9 00021634
	v_cvt_pk_fp8_f32 v56, v53, v54                             // 00000000ED1C: D2A20038 00026D35
	v_cvt_off_f32_i4_sdwa v53, v52 dst_sel:DWORD dst_unused:UNUSED_PRESERVE src0_sel:BYTE_1// 00000000ED24: 7E6A1CF9 00011634
	v_cvt_off_f32_i4_sdwa v54, v52 dst_sel:DWORD dst_unused:UNUSED_PRESERVE src0_sel:BYTE_3// 00000000ED2C: 7E6C1CF9 00031634
	v_cvt_pk_fp8_f32 v57, v53, v54                             // 00000000ED34: D2A20039 00026D35
	v_lshrrev_b32_e32 v55, 4, v52                              // 00000000ED3C: 206E6884
	v_cvt_off_f32_i4_e32 v53, v55                              // 00000000ED40: 7E6A1D37
	v_cvt_off_f32_i4_sdwa v54, v55 dst_sel:DWORD dst_unused:UNUSED_PRESERVE src0_sel:BYTE_2// 00000000ED44: 7E6C1CF9 00021637
	v_cvt_pk_fp8_f32 v56, v53, v54 op_sel:[0,0,1]              // 00000000ED4C: D2A24038 00026D35
	v_cvt_off_f32_i4_sdwa v53, v55 dst_sel:DWORD dst_unused:UNUSED_PRESERVE src0_sel:BYTE_1// 00000000ED54: 7E6A1CF9 00011637
	v_cvt_off_f32_i4_sdwa v54, v55 dst_sel:DWORD dst_unused:UNUSED_PRESERVE src0_sel:BYTE_3// 00000000ED5C: 7E6C1CF9 00031637
	v_cvt_pk_fp8_f32 v57, v53, v54 op_sel:[0,0,1]              // 00000000ED64: D2A24039 00026D35
	v_accvgpr_write_b32 a50, v56                               // 00000000ED6C: D3D94032 18000138
	v_accvgpr_write_b32 a51, v57                               // 00000000ED74: D3D94033 18000139
	s_nop 3                                                    // 00000000ED7C: BF800003
	v_mfma_f32_16x16x32_fp8_fp8 v[208:211], a[50:51], v[138:139], v[208:211]// 00000000ED80: D3F300D0 0F431532
	buffer_load_dwordx4 a[216:219], v44, s[12:15], 0 offen     // 00000000ED88: E05C1000 8083D82C
	v_accvgpr_read_b32 v52, a90                                // 00000000ED90: D3D84034 1800015A
	v_cvt_off_f32_i4_e32 v53, v52                              // 00000000ED98: 7E6A1D34
	v_cvt_off_f32_i4_sdwa v54, v52 dst_sel:DWORD dst_unused:UNUSED_PRESERVE src0_sel:BYTE_2// 00000000ED9C: 7E6C1CF9 00021634
	v_cvt_pk_fp8_f32 v56, v53, v54                             // 00000000EDA4: D2A20038 00026D35
	v_cvt_off_f32_i4_sdwa v53, v52 dst_sel:DWORD dst_unused:UNUSED_PRESERVE src0_sel:BYTE_1// 00000000EDAC: 7E6A1CF9 00011634
	v_cvt_off_f32_i4_sdwa v54, v52 dst_sel:DWORD dst_unused:UNUSED_PRESERVE src0_sel:BYTE_3// 00000000EDB4: 7E6C1CF9 00031634
	v_cvt_pk_fp8_f32 v57, v53, v54                             // 00000000EDBC: D2A20039 00026D35
	v_lshrrev_b32_e32 v55, 4, v52                              // 00000000EDC4: 206E6884
	v_cvt_off_f32_i4_e32 v53, v55                              // 00000000EDC8: 7E6A1D37
	v_cvt_off_f32_i4_sdwa v54, v55 dst_sel:DWORD dst_unused:UNUSED_PRESERVE src0_sel:BYTE_2// 00000000EDCC: 7E6C1CF9 00021637
	v_cvt_pk_fp8_f32 v56, v53, v54 op_sel:[0,0,1]              // 00000000EDD4: D2A24038 00026D35
	v_cvt_off_f32_i4_sdwa v53, v55 dst_sel:DWORD dst_unused:UNUSED_PRESERVE src0_sel:BYTE_1// 00000000EDDC: 7E6A1CF9 00011637
	v_cvt_off_f32_i4_sdwa v54, v55 dst_sel:DWORD dst_unused:UNUSED_PRESERVE src0_sel:BYTE_3// 00000000EDE4: 7E6C1CF9 00031637
	v_cvt_pk_fp8_f32 v57, v53, v54 op_sel:[0,0,1]              // 00000000EDEC: D2A24039 00026D35
	v_accvgpr_write_b32 a52, v56                               // 00000000EDF4: D3D94034 18000138
	v_accvgpr_write_b32 a53, v57                               // 00000000EDFC: D3D94035 18000139
	s_nop 3                                                    // 00000000EE04: BF800003
	v_mfma_f32_16x16x32_fp8_fp8 v[208:211], a[52:53], v[140:141], v[208:211]// 00000000EE08: D3F300D0 0F431934
	v_accvgpr_read_b32 v52, a91                                // 00000000EE10: D3D84034 1800015B
	v_cvt_off_f32_i4_e32 v53, v52                              // 00000000EE18: 7E6A1D34
	v_cvt_off_f32_i4_sdwa v54, v52 dst_sel:DWORD dst_unused:UNUSED_PRESERVE src0_sel:BYTE_2// 00000000EE1C: 7E6C1CF9 00021634
	v_cvt_pk_fp8_f32 v56, v53, v54                             // 00000000EE24: D2A20038 00026D35
	v_cvt_off_f32_i4_sdwa v53, v52 dst_sel:DWORD dst_unused:UNUSED_PRESERVE src0_sel:BYTE_1// 00000000EE2C: 7E6A1CF9 00011634
	v_cvt_off_f32_i4_sdwa v54, v52 dst_sel:DWORD dst_unused:UNUSED_PRESERVE src0_sel:BYTE_3// 00000000EE34: 7E6C1CF9 00031634
	v_cvt_pk_fp8_f32 v57, v53, v54                             // 00000000EE3C: D2A20039 00026D35
	v_lshrrev_b32_e32 v55, 4, v52                              // 00000000EE44: 206E6884
	v_cvt_off_f32_i4_e32 v53, v55                              // 00000000EE48: 7E6A1D37
	v_cvt_off_f32_i4_sdwa v54, v55 dst_sel:DWORD dst_unused:UNUSED_PRESERVE src0_sel:BYTE_2// 00000000EE4C: 7E6C1CF9 00021637
	v_cvt_pk_fp8_f32 v56, v53, v54 op_sel:[0,0,1]              // 00000000EE54: D2A24038 00026D35
	v_cvt_off_f32_i4_sdwa v53, v55 dst_sel:DWORD dst_unused:UNUSED_PRESERVE src0_sel:BYTE_1// 00000000EE5C: 7E6A1CF9 00011637
	v_cvt_off_f32_i4_sdwa v54, v55 dst_sel:DWORD dst_unused:UNUSED_PRESERVE src0_sel:BYTE_3// 00000000EE64: 7E6C1CF9 00031637
	v_cvt_pk_fp8_f32 v57, v53, v54 op_sel:[0,0,1]              // 00000000EE6C: D2A24039 00026D35
	v_accvgpr_write_b32 a54, v56                               // 00000000EE74: D3D94036 18000138
	v_accvgpr_write_b32 a55, v57                               // 00000000EE7C: D3D94037 18000139
	s_nop 3                                                    // 00000000EE84: BF800003
	v_mfma_f32_16x16x32_fp8_fp8 v[208:211], a[54:55], v[142:143], v[208:211]// 00000000EE88: D3F300D0 0F431D36
	buffer_load_dword v13, v5, s[16:19], 0 offen               // 00000000EE90: E0501000 80040D05
	v_mfma_f32_16x16x32_fp8_fp8 v[212:215], a[48:49], v[168:169], v[212:215]// 00000000EE98: D3F300D4 0F535130
	v_mfma_f32_16x16x32_fp8_fp8 v[212:215], a[50:51], v[170:171], v[212:215]// 00000000EEA0: D3F300D4 0F535532
	v_mfma_f32_16x16x32_fp8_fp8 v[212:215], a[52:53], v[172:173], v[212:215]// 00000000EEA8: D3F300D4 0F535934
	v_mfma_f32_16x16x32_fp8_fp8 v[212:215], a[54:55], v[174:175], v[212:215]// 00000000EEB0: D3F300D4 0F535D36
	v_accvgpr_read_b32 v52, a92                                // 00000000EEB8: D3D84034 1800015C
	v_cvt_off_f32_i4_e32 v53, v52                              // 00000000EEC0: 7E6A1D34
	v_cvt_off_f32_i4_sdwa v54, v52 dst_sel:DWORD dst_unused:UNUSED_PRESERVE src0_sel:BYTE_2// 00000000EEC4: 7E6C1CF9 00021634
	v_cvt_pk_fp8_f32 v56, v53, v54                             // 00000000EECC: D2A20038 00026D35
	v_cvt_off_f32_i4_sdwa v53, v52 dst_sel:DWORD dst_unused:UNUSED_PRESERVE src0_sel:BYTE_1// 00000000EED4: 7E6A1CF9 00011634
	v_cvt_off_f32_i4_sdwa v54, v52 dst_sel:DWORD dst_unused:UNUSED_PRESERVE src0_sel:BYTE_3// 00000000EEDC: 7E6C1CF9 00031634
	v_cvt_pk_fp8_f32 v57, v53, v54                             // 00000000EEE4: D2A20039 00026D35
	v_lshrrev_b32_e32 v55, 4, v52                              // 00000000EEEC: 206E6884
	v_cvt_off_f32_i4_e32 v53, v55                              // 00000000EEF0: 7E6A1D37
	v_cvt_off_f32_i4_sdwa v54, v55 dst_sel:DWORD dst_unused:UNUSED_PRESERVE src0_sel:BYTE_2// 00000000EEF4: 7E6C1CF9 00021637
	v_cvt_pk_fp8_f32 v56, v53, v54 op_sel:[0,0,1]              // 00000000EEFC: D2A24038 00026D35
	v_cvt_off_f32_i4_sdwa v53, v55 dst_sel:DWORD dst_unused:UNUSED_PRESERVE src0_sel:BYTE_1// 00000000EF04: 7E6A1CF9 00011637
	v_cvt_off_f32_i4_sdwa v54, v55 dst_sel:DWORD dst_unused:UNUSED_PRESERVE src0_sel:BYTE_3// 00000000EF0C: 7E6C1CF9 00031637
	v_cvt_pk_fp8_f32 v57, v53, v54 op_sel:[0,0,1]              // 00000000EF14: D2A24039 00026D35
	v_accvgpr_write_b32 a56, v56                               // 00000000EF1C: D3D94038 18000138
	v_accvgpr_write_b32 a57, v57                               // 00000000EF24: D3D94039 18000139
	s_nop 3                                                    // 00000000EF2C: BF800003
	v_mfma_f32_16x16x32_fp8_fp8 v[216:219], a[56:57], v[136:137], v[216:219]// 00000000EF30: D3F300D8 0F631138
	v_accvgpr_read_b32 v52, a93                                // 00000000EF38: D3D84034 1800015D
	v_cvt_off_f32_i4_e32 v53, v52                              // 00000000EF40: 7E6A1D34
	v_cvt_off_f32_i4_sdwa v54, v52 dst_sel:DWORD dst_unused:UNUSED_PRESERVE src0_sel:BYTE_2// 00000000EF44: 7E6C1CF9 00021634
	v_cvt_pk_fp8_f32 v56, v53, v54                             // 00000000EF4C: D2A20038 00026D35
	v_cvt_off_f32_i4_sdwa v53, v52 dst_sel:DWORD dst_unused:UNUSED_PRESERVE src0_sel:BYTE_1// 00000000EF54: 7E6A1CF9 00011634
	v_cvt_off_f32_i4_sdwa v54, v52 dst_sel:DWORD dst_unused:UNUSED_PRESERVE src0_sel:BYTE_3// 00000000EF5C: 7E6C1CF9 00031634
	v_cvt_pk_fp8_f32 v57, v53, v54                             // 00000000EF64: D2A20039 00026D35
	v_lshrrev_b32_e32 v55, 4, v52                              // 00000000EF6C: 206E6884
	v_cvt_off_f32_i4_e32 v53, v55                              // 00000000EF70: 7E6A1D37
	v_cvt_off_f32_i4_sdwa v54, v55 dst_sel:DWORD dst_unused:UNUSED_PRESERVE src0_sel:BYTE_2// 00000000EF74: 7E6C1CF9 00021637
	v_cvt_pk_fp8_f32 v56, v53, v54 op_sel:[0,0,1]              // 00000000EF7C: D2A24038 00026D35
	v_cvt_off_f32_i4_sdwa v53, v55 dst_sel:DWORD dst_unused:UNUSED_PRESERVE src0_sel:BYTE_1// 00000000EF84: 7E6A1CF9 00011637
	v_cvt_off_f32_i4_sdwa v54, v55 dst_sel:DWORD dst_unused:UNUSED_PRESERVE src0_sel:BYTE_3// 00000000EF8C: 7E6C1CF9 00031637
	v_cvt_pk_fp8_f32 v57, v53, v54 op_sel:[0,0,1]              // 00000000EF94: D2A24039 00026D35
	v_accvgpr_write_b32 a58, v56                               // 00000000EF9C: D3D9403A 18000138
	v_accvgpr_write_b32 a59, v57                               // 00000000EFA4: D3D9403B 18000139
	s_nop 3                                                    // 00000000EFAC: BF800003
	v_mfma_f32_16x16x32_fp8_fp8 v[216:219], a[58:59], v[138:139], v[216:219]// 00000000EFB0: D3F300D8 0F63153A
	buffer_load_dwordx4 a[220:223], v45, s[12:15], 0 offen     // 00000000EFB8: E05C1000 8083DC2D
	s_add_u32 s12, s78, s12                                    // 00000000EFC0: 800C0C4E
	s_addc_u32 s13, 0, s13                                     // 00000000EFC4: 820D0D80
	v_accvgpr_read_b32 v52, a94                                // 00000000EFC8: D3D84034 1800015E
	v_cvt_off_f32_i4_e32 v53, v52                              // 00000000EFD0: 7E6A1D34
	v_cvt_off_f32_i4_sdwa v54, v52 dst_sel:DWORD dst_unused:UNUSED_PRESERVE src0_sel:BYTE_2// 00000000EFD4: 7E6C1CF9 00021634
	v_cvt_pk_fp8_f32 v56, v53, v54                             // 00000000EFDC: D2A20038 00026D35
	v_cvt_off_f32_i4_sdwa v53, v52 dst_sel:DWORD dst_unused:UNUSED_PRESERVE src0_sel:BYTE_1// 00000000EFE4: 7E6A1CF9 00011634
	v_cvt_off_f32_i4_sdwa v54, v52 dst_sel:DWORD dst_unused:UNUSED_PRESERVE src0_sel:BYTE_3// 00000000EFEC: 7E6C1CF9 00031634
	v_cvt_pk_fp8_f32 v57, v53, v54                             // 00000000EFF4: D2A20039 00026D35
	v_lshrrev_b32_e32 v55, 4, v52                              // 00000000EFFC: 206E6884
	v_cvt_off_f32_i4_e32 v53, v55                              // 00000000F000: 7E6A1D37
	v_cvt_off_f32_i4_sdwa v54, v55 dst_sel:DWORD dst_unused:UNUSED_PRESERVE src0_sel:BYTE_2// 00000000F004: 7E6C1CF9 00021637
	v_cvt_pk_fp8_f32 v56, v53, v54 op_sel:[0,0,1]              // 00000000F00C: D2A24038 00026D35
	v_cvt_off_f32_i4_sdwa v53, v55 dst_sel:DWORD dst_unused:UNUSED_PRESERVE src0_sel:BYTE_1// 00000000F014: 7E6A1CF9 00011637
	v_cvt_off_f32_i4_sdwa v54, v55 dst_sel:DWORD dst_unused:UNUSED_PRESERVE src0_sel:BYTE_3// 00000000F01C: 7E6C1CF9 00031637
	v_cvt_pk_fp8_f32 v57, v53, v54 op_sel:[0,0,1]              // 00000000F024: D2A24039 00026D35
	v_accvgpr_write_b32 a60, v56                               // 00000000F02C: D3D9403C 18000138
	v_accvgpr_write_b32 a61, v57                               // 00000000F034: D3D9403D 18000139
	s_nop 3                                                    // 00000000F03C: BF800003
	v_mfma_f32_16x16x32_fp8_fp8 v[216:219], a[60:61], v[140:141], v[216:219]// 00000000F040: D3F300D8 0F63193C
	v_accvgpr_read_b32 v52, a95                                // 00000000F048: D3D84034 1800015F
	v_cvt_off_f32_i4_e32 v53, v52                              // 00000000F050: 7E6A1D34
	v_cvt_off_f32_i4_sdwa v54, v52 dst_sel:DWORD dst_unused:UNUSED_PRESERVE src0_sel:BYTE_2// 00000000F054: 7E6C1CF9 00021634
	v_cvt_pk_fp8_f32 v56, v53, v54                             // 00000000F05C: D2A20038 00026D35
	v_cvt_off_f32_i4_sdwa v53, v52 dst_sel:DWORD dst_unused:UNUSED_PRESERVE src0_sel:BYTE_1// 00000000F064: 7E6A1CF9 00011634
	v_cvt_off_f32_i4_sdwa v54, v52 dst_sel:DWORD dst_unused:UNUSED_PRESERVE src0_sel:BYTE_3// 00000000F06C: 7E6C1CF9 00031634
	v_cvt_pk_fp8_f32 v57, v53, v54                             // 00000000F074: D2A20039 00026D35
	v_lshrrev_b32_e32 v55, 4, v52                              // 00000000F07C: 206E6884
	v_cvt_off_f32_i4_e32 v53, v55                              // 00000000F080: 7E6A1D37
	v_cvt_off_f32_i4_sdwa v54, v55 dst_sel:DWORD dst_unused:UNUSED_PRESERVE src0_sel:BYTE_2// 00000000F084: 7E6C1CF9 00021637
	v_cvt_pk_fp8_f32 v56, v53, v54 op_sel:[0,0,1]              // 00000000F08C: D2A24038 00026D35
	v_cvt_off_f32_i4_sdwa v53, v55 dst_sel:DWORD dst_unused:UNUSED_PRESERVE src0_sel:BYTE_1// 00000000F094: 7E6A1CF9 00011637
	v_cvt_off_f32_i4_sdwa v54, v55 dst_sel:DWORD dst_unused:UNUSED_PRESERVE src0_sel:BYTE_3// 00000000F09C: 7E6C1CF9 00031637
	v_cvt_pk_fp8_f32 v57, v53, v54 op_sel:[0,0,1]              // 00000000F0A4: D2A24039 00026D35
	v_accvgpr_write_b32 a62, v56                               // 00000000F0AC: D3D9403E 18000138
	v_accvgpr_write_b32 a63, v57                               // 00000000F0B4: D3D9403F 18000139
	s_nop 3                                                    // 00000000F0BC: BF800003
	v_mfma_f32_16x16x32_fp8_fp8 v[216:219], a[62:63], v[142:143], v[216:219]// 00000000F0C0: D3F300D8 0F631D3E
	v_mfma_f32_16x16x32_fp8_fp8 v[220:223], a[56:57], v[168:169], v[220:223]// 00000000F0C8: D3F300DC 0F735138
	v_mfma_f32_16x16x32_fp8_fp8 v[220:223], a[58:59], v[170:171], v[220:223]// 00000000F0D0: D3F300DC 0F73553A
	v_mfma_f32_16x16x32_fp8_fp8 v[220:223], a[60:61], v[172:173], v[220:223]// 00000000F0D8: D3F300DC 0F73593C
	v_mfma_f32_16x16x32_fp8_fp8 v[220:223], a[62:63], v[174:175], v[220:223]// 00000000F0E0: D3F300DC 0F735D3E
	s_waitcnt vmcnt(28)                                        // 00000000F0E8: BF8C4F7C
	v_accvgpr_read_b32 v52, a96                                // 00000000F0EC: D3D84034 18000160
	v_cvt_off_f32_i4_e32 v53, v52                              // 00000000F0F4: 7E6A1D34
	v_cvt_off_f32_i4_sdwa v54, v52 dst_sel:DWORD dst_unused:UNUSED_PRESERVE src0_sel:BYTE_2// 00000000F0F8: 7E6C1CF9 00021634
	v_cvt_pk_fp8_f32 v56, v53, v54                             // 00000000F100: D2A20038 00026D35
	v_cvt_off_f32_i4_sdwa v53, v52 dst_sel:DWORD dst_unused:UNUSED_PRESERVE src0_sel:BYTE_1// 00000000F108: 7E6A1CF9 00011634
	v_cvt_off_f32_i4_sdwa v54, v52 dst_sel:DWORD dst_unused:UNUSED_PRESERVE src0_sel:BYTE_3// 00000000F110: 7E6C1CF9 00031634
	v_cvt_pk_fp8_f32 v57, v53, v54                             // 00000000F118: D2A20039 00026D35
	v_lshrrev_b32_e32 v55, 4, v52                              // 00000000F120: 206E6884
	v_cvt_off_f32_i4_e32 v53, v55                              // 00000000F124: 7E6A1D37
	v_cvt_off_f32_i4_sdwa v54, v55 dst_sel:DWORD dst_unused:UNUSED_PRESERVE src0_sel:BYTE_2// 00000000F128: 7E6C1CF9 00021637
	v_cvt_pk_fp8_f32 v56, v53, v54 op_sel:[0,0,1]              // 00000000F130: D2A24038 00026D35
	v_cvt_off_f32_i4_sdwa v53, v55 dst_sel:DWORD dst_unused:UNUSED_PRESERVE src0_sel:BYTE_1// 00000000F138: 7E6A1CF9 00011637
	v_cvt_off_f32_i4_sdwa v54, v55 dst_sel:DWORD dst_unused:UNUSED_PRESERVE src0_sel:BYTE_3// 00000000F140: 7E6C1CF9 00031637
	v_cvt_pk_fp8_f32 v57, v53, v54 op_sel:[0,0,1]              // 00000000F148: D2A24039 00026D35
	v_accvgpr_write_b32 a64, v56                               // 00000000F150: D3D94040 18000138
	v_accvgpr_write_b32 a65, v57                               // 00000000F158: D3D94041 18000139
	s_nop 3                                                    // 00000000F160: BF800003
	v_mfma_f32_16x16x32_fp8_fp8 v[192:195], a[64:65], v[144:145], v[192:195]// 00000000F164: D3F300C0 0F032140
	v_accvgpr_read_b32 v52, a97                                // 00000000F16C: D3D84034 18000161
	v_cvt_off_f32_i4_e32 v53, v52                              // 00000000F174: 7E6A1D34
	v_cvt_off_f32_i4_sdwa v54, v52 dst_sel:DWORD dst_unused:UNUSED_PRESERVE src0_sel:BYTE_2// 00000000F178: 7E6C1CF9 00021634
	v_cvt_pk_fp8_f32 v56, v53, v54                             // 00000000F180: D2A20038 00026D35
	v_cvt_off_f32_i4_sdwa v53, v52 dst_sel:DWORD dst_unused:UNUSED_PRESERVE src0_sel:BYTE_1// 00000000F188: 7E6A1CF9 00011634
	v_cvt_off_f32_i4_sdwa v54, v52 dst_sel:DWORD dst_unused:UNUSED_PRESERVE src0_sel:BYTE_3// 00000000F190: 7E6C1CF9 00031634
	v_cvt_pk_fp8_f32 v57, v53, v54                             // 00000000F198: D2A20039 00026D35
	v_lshrrev_b32_e32 v55, 4, v52                              // 00000000F1A0: 206E6884
	v_cvt_off_f32_i4_e32 v53, v55                              // 00000000F1A4: 7E6A1D37
	v_cvt_off_f32_i4_sdwa v54, v55 dst_sel:DWORD dst_unused:UNUSED_PRESERVE src0_sel:BYTE_2// 00000000F1A8: 7E6C1CF9 00021637
	v_cvt_pk_fp8_f32 v56, v53, v54 op_sel:[0,0,1]              // 00000000F1B0: D2A24038 00026D35
	v_cvt_off_f32_i4_sdwa v53, v55 dst_sel:DWORD dst_unused:UNUSED_PRESERVE src0_sel:BYTE_1// 00000000F1B8: 7E6A1CF9 00011637
	v_cvt_off_f32_i4_sdwa v54, v55 dst_sel:DWORD dst_unused:UNUSED_PRESERVE src0_sel:BYTE_3// 00000000F1C0: 7E6C1CF9 00031637
	v_cvt_pk_fp8_f32 v57, v53, v54 op_sel:[0,0,1]              // 00000000F1C8: D2A24039 00026D35
	v_accvgpr_write_b32 a66, v56                               // 00000000F1D0: D3D94042 18000138
	v_accvgpr_write_b32 a67, v57                               // 00000000F1D8: D3D94043 18000139
	s_nop 3                                                    // 00000000F1E0: BF800003
	v_mfma_f32_16x16x32_fp8_fp8 v[192:195], a[66:67], v[146:147], v[192:195]// 00000000F1E4: D3F300C0 0F032542
	buffer_load_dwordx4 a[224:227], v42, s[12:15], 0 offen     // 00000000F1EC: E05C1000 8083E02A
	v_accvgpr_read_b32 v52, a98                                // 00000000F1F4: D3D84034 18000162
	v_cvt_off_f32_i4_e32 v53, v52                              // 00000000F1FC: 7E6A1D34
	v_cvt_off_f32_i4_sdwa v54, v52 dst_sel:DWORD dst_unused:UNUSED_PRESERVE src0_sel:BYTE_2// 00000000F200: 7E6C1CF9 00021634
	v_cvt_pk_fp8_f32 v56, v53, v54                             // 00000000F208: D2A20038 00026D35
	v_cvt_off_f32_i4_sdwa v53, v52 dst_sel:DWORD dst_unused:UNUSED_PRESERVE src0_sel:BYTE_1// 00000000F210: 7E6A1CF9 00011634
	v_cvt_off_f32_i4_sdwa v54, v52 dst_sel:DWORD dst_unused:UNUSED_PRESERVE src0_sel:BYTE_3// 00000000F218: 7E6C1CF9 00031634
	v_cvt_pk_fp8_f32 v57, v53, v54                             // 00000000F220: D2A20039 00026D35
	v_lshrrev_b32_e32 v55, 4, v52                              // 00000000F228: 206E6884
	v_cvt_off_f32_i4_e32 v53, v55                              // 00000000F22C: 7E6A1D37
	v_cvt_off_f32_i4_sdwa v54, v55 dst_sel:DWORD dst_unused:UNUSED_PRESERVE src0_sel:BYTE_2// 00000000F230: 7E6C1CF9 00021637
	v_cvt_pk_fp8_f32 v56, v53, v54 op_sel:[0,0,1]              // 00000000F238: D2A24038 00026D35
	v_cvt_off_f32_i4_sdwa v53, v55 dst_sel:DWORD dst_unused:UNUSED_PRESERVE src0_sel:BYTE_1// 00000000F240: 7E6A1CF9 00011637
	v_cvt_off_f32_i4_sdwa v54, v55 dst_sel:DWORD dst_unused:UNUSED_PRESERVE src0_sel:BYTE_3// 00000000F248: 7E6C1CF9 00031637
	v_cvt_pk_fp8_f32 v57, v53, v54 op_sel:[0,0,1]              // 00000000F250: D2A24039 00026D35
	v_accvgpr_write_b32 a68, v56                               // 00000000F258: D3D94044 18000138
	v_accvgpr_write_b32 a69, v57                               // 00000000F260: D3D94045 18000139
	s_nop 3                                                    // 00000000F268: BF800003
	v_mfma_f32_16x16x32_fp8_fp8 v[192:195], a[68:69], v[148:149], v[192:195]// 00000000F26C: D3F300C0 0F032944
	v_accvgpr_read_b32 v52, a99                                // 00000000F274: D3D84034 18000163
	v_cvt_off_f32_i4_e32 v53, v52                              // 00000000F27C: 7E6A1D34
	v_cvt_off_f32_i4_sdwa v54, v52 dst_sel:DWORD dst_unused:UNUSED_PRESERVE src0_sel:BYTE_2// 00000000F280: 7E6C1CF9 00021634
	v_cvt_pk_fp8_f32 v56, v53, v54                             // 00000000F288: D2A20038 00026D35
	v_cvt_off_f32_i4_sdwa v53, v52 dst_sel:DWORD dst_unused:UNUSED_PRESERVE src0_sel:BYTE_1// 00000000F290: 7E6A1CF9 00011634
	v_cvt_off_f32_i4_sdwa v54, v52 dst_sel:DWORD dst_unused:UNUSED_PRESERVE src0_sel:BYTE_3// 00000000F298: 7E6C1CF9 00031634
	v_cvt_pk_fp8_f32 v57, v53, v54                             // 00000000F2A0: D2A20039 00026D35
	v_lshrrev_b32_e32 v55, 4, v52                              // 00000000F2A8: 206E6884
	v_cvt_off_f32_i4_e32 v53, v55                              // 00000000F2AC: 7E6A1D37
	v_cvt_off_f32_i4_sdwa v54, v55 dst_sel:DWORD dst_unused:UNUSED_PRESERVE src0_sel:BYTE_2// 00000000F2B0: 7E6C1CF9 00021637
	v_cvt_pk_fp8_f32 v56, v53, v54 op_sel:[0,0,1]              // 00000000F2B8: D2A24038 00026D35
	v_cvt_off_f32_i4_sdwa v53, v55 dst_sel:DWORD dst_unused:UNUSED_PRESERVE src0_sel:BYTE_1// 00000000F2C0: 7E6A1CF9 00011637
	v_cvt_off_f32_i4_sdwa v54, v55 dst_sel:DWORD dst_unused:UNUSED_PRESERVE src0_sel:BYTE_3// 00000000F2C8: 7E6C1CF9 00031637
	v_cvt_pk_fp8_f32 v57, v53, v54 op_sel:[0,0,1]              // 00000000F2D0: D2A24039 00026D35
	v_accvgpr_write_b32 a70, v56                               // 00000000F2D8: D3D94046 18000138
	v_accvgpr_write_b32 a71, v57                               // 00000000F2E0: D3D94047 18000139
	s_nop 3                                                    // 00000000F2E8: BF800003
	v_mfma_f32_16x16x32_fp8_fp8 v[192:195], a[70:71], v[150:151], v[192:195]// 00000000F2EC: D3F300C0 0F032D46
	v_mfma_f32_16x16x32_fp8_fp8 v[196:199], a[64:65], v[176:177], v[196:199]// 00000000F2F4: D3F300C4 0F136140
	v_mfma_f32_16x16x32_fp8_fp8 v[196:199], a[66:67], v[178:179], v[196:199]// 00000000F2FC: D3F300C4 0F136542
	v_mfma_f32_16x16x32_fp8_fp8 v[196:199], a[68:69], v[180:181], v[196:199]// 00000000F304: D3F300C4 0F136944
	v_mfma_f32_16x16x32_fp8_fp8 v[196:199], a[70:71], v[182:183], v[196:199]// 00000000F30C: D3F300C4 0F136D46
	v_accvgpr_read_b32 v52, a100                               // 00000000F314: D3D84034 18000164
	v_cvt_off_f32_i4_e32 v53, v52                              // 00000000F31C: 7E6A1D34
	v_cvt_off_f32_i4_sdwa v54, v52 dst_sel:DWORD dst_unused:UNUSED_PRESERVE src0_sel:BYTE_2// 00000000F320: 7E6C1CF9 00021634
	v_cvt_pk_fp8_f32 v56, v53, v54                             // 00000000F328: D2A20038 00026D35
	v_cvt_off_f32_i4_sdwa v53, v52 dst_sel:DWORD dst_unused:UNUSED_PRESERVE src0_sel:BYTE_1// 00000000F330: 7E6A1CF9 00011634
	v_cvt_off_f32_i4_sdwa v54, v52 dst_sel:DWORD dst_unused:UNUSED_PRESERVE src0_sel:BYTE_3// 00000000F338: 7E6C1CF9 00031634
	v_cvt_pk_fp8_f32 v57, v53, v54                             // 00000000F340: D2A20039 00026D35
	v_lshrrev_b32_e32 v55, 4, v52                              // 00000000F348: 206E6884
	v_cvt_off_f32_i4_e32 v53, v55                              // 00000000F34C: 7E6A1D37
	v_cvt_off_f32_i4_sdwa v54, v55 dst_sel:DWORD dst_unused:UNUSED_PRESERVE src0_sel:BYTE_2// 00000000F350: 7E6C1CF9 00021637
	v_cvt_pk_fp8_f32 v56, v53, v54 op_sel:[0,0,1]              // 00000000F358: D2A24038 00026D35
	v_cvt_off_f32_i4_sdwa v53, v55 dst_sel:DWORD dst_unused:UNUSED_PRESERVE src0_sel:BYTE_1// 00000000F360: 7E6A1CF9 00011637
	v_cvt_off_f32_i4_sdwa v54, v55 dst_sel:DWORD dst_unused:UNUSED_PRESERVE src0_sel:BYTE_3// 00000000F368: 7E6C1CF9 00031637
	v_cvt_pk_fp8_f32 v57, v53, v54 op_sel:[0,0,1]              // 00000000F370: D2A24039 00026D35
	v_accvgpr_write_b32 a72, v56                               // 00000000F378: D3D94048 18000138
	v_accvgpr_write_b32 a73, v57                               // 00000000F380: D3D94049 18000139
	s_nop 3                                                    // 00000000F388: BF800003
	v_mfma_f32_16x16x32_fp8_fp8 v[200:203], a[72:73], v[144:145], v[200:203]// 00000000F38C: D3F300C8 0F232148
	v_accvgpr_read_b32 v52, a101                               // 00000000F394: D3D84034 18000165
	v_cvt_off_f32_i4_e32 v53, v52                              // 00000000F39C: 7E6A1D34
	v_cvt_off_f32_i4_sdwa v54, v52 dst_sel:DWORD dst_unused:UNUSED_PRESERVE src0_sel:BYTE_2// 00000000F3A0: 7E6C1CF9 00021634
	v_cvt_pk_fp8_f32 v56, v53, v54                             // 00000000F3A8: D2A20038 00026D35
	v_cvt_off_f32_i4_sdwa v53, v52 dst_sel:DWORD dst_unused:UNUSED_PRESERVE src0_sel:BYTE_1// 00000000F3B0: 7E6A1CF9 00011634
	v_cvt_off_f32_i4_sdwa v54, v52 dst_sel:DWORD dst_unused:UNUSED_PRESERVE src0_sel:BYTE_3// 00000000F3B8: 7E6C1CF9 00031634
	v_cvt_pk_fp8_f32 v57, v53, v54                             // 00000000F3C0: D2A20039 00026D35
	v_lshrrev_b32_e32 v55, 4, v52                              // 00000000F3C8: 206E6884
	v_cvt_off_f32_i4_e32 v53, v55                              // 00000000F3CC: 7E6A1D37
	v_cvt_off_f32_i4_sdwa v54, v55 dst_sel:DWORD dst_unused:UNUSED_PRESERVE src0_sel:BYTE_2// 00000000F3D0: 7E6C1CF9 00021637
	v_cvt_pk_fp8_f32 v56, v53, v54 op_sel:[0,0,1]              // 00000000F3D8: D2A24038 00026D35
	v_cvt_off_f32_i4_sdwa v53, v55 dst_sel:DWORD dst_unused:UNUSED_PRESERVE src0_sel:BYTE_1// 00000000F3E0: 7E6A1CF9 00011637
	v_cvt_off_f32_i4_sdwa v54, v55 dst_sel:DWORD dst_unused:UNUSED_PRESERVE src0_sel:BYTE_3// 00000000F3E8: 7E6C1CF9 00031637
	v_cvt_pk_fp8_f32 v57, v53, v54 op_sel:[0,0,1]              // 00000000F3F0: D2A24039 00026D35
	v_accvgpr_write_b32 a74, v56                               // 00000000F3F8: D3D9404A 18000138
	v_accvgpr_write_b32 a75, v57                               // 00000000F400: D3D9404B 18000139
	s_nop 3                                                    // 00000000F408: BF800003
	v_mfma_f32_16x16x32_fp8_fp8 v[200:203], a[74:75], v[146:147], v[200:203]// 00000000F40C: D3F300C8 0F23254A
	buffer_load_dwordx4 a[228:231], v43, s[12:15], 0 offen     // 00000000F414: E05C1000 8083E42B
	v_accvgpr_read_b32 v52, a102                               // 00000000F41C: D3D84034 18000166
	v_cvt_off_f32_i4_e32 v53, v52                              // 00000000F424: 7E6A1D34
	v_cvt_off_f32_i4_sdwa v54, v52 dst_sel:DWORD dst_unused:UNUSED_PRESERVE src0_sel:BYTE_2// 00000000F428: 7E6C1CF9 00021634
	v_cvt_pk_fp8_f32 v56, v53, v54                             // 00000000F430: D2A20038 00026D35
	v_cvt_off_f32_i4_sdwa v53, v52 dst_sel:DWORD dst_unused:UNUSED_PRESERVE src0_sel:BYTE_1// 00000000F438: 7E6A1CF9 00011634
	v_cvt_off_f32_i4_sdwa v54, v52 dst_sel:DWORD dst_unused:UNUSED_PRESERVE src0_sel:BYTE_3// 00000000F440: 7E6C1CF9 00031634
	v_cvt_pk_fp8_f32 v57, v53, v54                             // 00000000F448: D2A20039 00026D35
	v_lshrrev_b32_e32 v55, 4, v52                              // 00000000F450: 206E6884
	v_cvt_off_f32_i4_e32 v53, v55                              // 00000000F454: 7E6A1D37
	v_cvt_off_f32_i4_sdwa v54, v55 dst_sel:DWORD dst_unused:UNUSED_PRESERVE src0_sel:BYTE_2// 00000000F458: 7E6C1CF9 00021637
	v_cvt_pk_fp8_f32 v56, v53, v54 op_sel:[0,0,1]              // 00000000F460: D2A24038 00026D35
	v_cvt_off_f32_i4_sdwa v53, v55 dst_sel:DWORD dst_unused:UNUSED_PRESERVE src0_sel:BYTE_1// 00000000F468: 7E6A1CF9 00011637
	v_cvt_off_f32_i4_sdwa v54, v55 dst_sel:DWORD dst_unused:UNUSED_PRESERVE src0_sel:BYTE_3// 00000000F470: 7E6C1CF9 00031637
	v_cvt_pk_fp8_f32 v57, v53, v54 op_sel:[0,0,1]              // 00000000F478: D2A24039 00026D35
	v_accvgpr_write_b32 a76, v56                               // 00000000F480: D3D9404C 18000138
	v_accvgpr_write_b32 a77, v57                               // 00000000F488: D3D9404D 18000139
	s_nop 3                                                    // 00000000F490: BF800003
	v_mfma_f32_16x16x32_fp8_fp8 v[200:203], a[76:77], v[148:149], v[200:203]// 00000000F494: D3F300C8 0F23294C
	v_accvgpr_read_b32 v52, a103                               // 00000000F49C: D3D84034 18000167
	v_cvt_off_f32_i4_e32 v53, v52                              // 00000000F4A4: 7E6A1D34
	v_cvt_off_f32_i4_sdwa v54, v52 dst_sel:DWORD dst_unused:UNUSED_PRESERVE src0_sel:BYTE_2// 00000000F4A8: 7E6C1CF9 00021634
	v_cvt_pk_fp8_f32 v56, v53, v54                             // 00000000F4B0: D2A20038 00026D35
	v_cvt_off_f32_i4_sdwa v53, v52 dst_sel:DWORD dst_unused:UNUSED_PRESERVE src0_sel:BYTE_1// 00000000F4B8: 7E6A1CF9 00011634
	v_cvt_off_f32_i4_sdwa v54, v52 dst_sel:DWORD dst_unused:UNUSED_PRESERVE src0_sel:BYTE_3// 00000000F4C0: 7E6C1CF9 00031634
	v_cvt_pk_fp8_f32 v57, v53, v54                             // 00000000F4C8: D2A20039 00026D35
	v_lshrrev_b32_e32 v55, 4, v52                              // 00000000F4D0: 206E6884
	v_cvt_off_f32_i4_e32 v53, v55                              // 00000000F4D4: 7E6A1D37
	v_cvt_off_f32_i4_sdwa v54, v55 dst_sel:DWORD dst_unused:UNUSED_PRESERVE src0_sel:BYTE_2// 00000000F4D8: 7E6C1CF9 00021637
	v_cvt_pk_fp8_f32 v56, v53, v54 op_sel:[0,0,1]              // 00000000F4E0: D2A24038 00026D35
	v_cvt_off_f32_i4_sdwa v53, v55 dst_sel:DWORD dst_unused:UNUSED_PRESERVE src0_sel:BYTE_1// 00000000F4E8: 7E6A1CF9 00011637
	v_cvt_off_f32_i4_sdwa v54, v55 dst_sel:DWORD dst_unused:UNUSED_PRESERVE src0_sel:BYTE_3// 00000000F4F0: 7E6C1CF9 00031637
	v_cvt_pk_fp8_f32 v57, v53, v54 op_sel:[0,0,1]              // 00000000F4F8: D2A24039 00026D35
	v_accvgpr_write_b32 a78, v56                               // 00000000F500: D3D9404E 18000138
	v_accvgpr_write_b32 a79, v57                               // 00000000F508: D3D9404F 18000139
	s_nop 3                                                    // 00000000F510: BF800003
	v_mfma_f32_16x16x32_fp8_fp8 v[200:203], a[78:79], v[150:151], v[200:203]// 00000000F514: D3F300C8 0F232D4E
	v_mfma_f32_16x16x32_fp8_fp8 v[204:207], a[72:73], v[176:177], v[204:207]// 00000000F51C: D3F300CC 0F336148
	v_mfma_f32_16x16x32_fp8_fp8 v[204:207], a[74:75], v[178:179], v[204:207]// 00000000F524: D3F300CC 0F33654A
	v_mfma_f32_16x16x32_fp8_fp8 v[204:207], a[76:77], v[180:181], v[204:207]// 00000000F52C: D3F300CC 0F33694C
	v_mfma_f32_16x16x32_fp8_fp8 v[204:207], a[78:79], v[182:183], v[204:207]// 00000000F534: D3F300CC 0F336D4E
	v_accvgpr_read_b32 v52, a104                               // 00000000F53C: D3D84034 18000168
	v_cvt_off_f32_i4_e32 v53, v52                              // 00000000F544: 7E6A1D34
	v_cvt_off_f32_i4_sdwa v54, v52 dst_sel:DWORD dst_unused:UNUSED_PRESERVE src0_sel:BYTE_2// 00000000F548: 7E6C1CF9 00021634
	v_cvt_pk_fp8_f32 v56, v53, v54                             // 00000000F550: D2A20038 00026D35
	v_cvt_off_f32_i4_sdwa v53, v52 dst_sel:DWORD dst_unused:UNUSED_PRESERVE src0_sel:BYTE_1// 00000000F558: 7E6A1CF9 00011634
	v_cvt_off_f32_i4_sdwa v54, v52 dst_sel:DWORD dst_unused:UNUSED_PRESERVE src0_sel:BYTE_3// 00000000F560: 7E6C1CF9 00031634
	v_cvt_pk_fp8_f32 v57, v53, v54                             // 00000000F568: D2A20039 00026D35
	v_lshrrev_b32_e32 v55, 4, v52                              // 00000000F570: 206E6884
	v_cvt_off_f32_i4_e32 v53, v55                              // 00000000F574: 7E6A1D37
	v_cvt_off_f32_i4_sdwa v54, v55 dst_sel:DWORD dst_unused:UNUSED_PRESERVE src0_sel:BYTE_2// 00000000F578: 7E6C1CF9 00021637
	v_cvt_pk_fp8_f32 v56, v53, v54 op_sel:[0,0,1]              // 00000000F580: D2A24038 00026D35
	v_cvt_off_f32_i4_sdwa v53, v55 dst_sel:DWORD dst_unused:UNUSED_PRESERVE src0_sel:BYTE_1// 00000000F588: 7E6A1CF9 00011637
	v_cvt_off_f32_i4_sdwa v54, v55 dst_sel:DWORD dst_unused:UNUSED_PRESERVE src0_sel:BYTE_3// 00000000F590: 7E6C1CF9 00031637
	v_cvt_pk_fp8_f32 v57, v53, v54 op_sel:[0,0,1]              // 00000000F598: D2A24039 00026D35
	v_accvgpr_write_b32 a80, v56                               // 00000000F5A0: D3D94050 18000138
	v_accvgpr_write_b32 a81, v57                               // 00000000F5A8: D3D94051 18000139
	s_nop 3                                                    // 00000000F5B0: BF800003
	v_mfma_f32_16x16x32_fp8_fp8 v[208:211], a[80:81], v[144:145], v[208:211]// 00000000F5B4: D3F300D0 0F432150
	v_accvgpr_read_b32 v52, a105                               // 00000000F5BC: D3D84034 18000169
	v_cvt_off_f32_i4_e32 v53, v52                              // 00000000F5C4: 7E6A1D34
	v_cvt_off_f32_i4_sdwa v54, v52 dst_sel:DWORD dst_unused:UNUSED_PRESERVE src0_sel:BYTE_2// 00000000F5C8: 7E6C1CF9 00021634
	v_cvt_pk_fp8_f32 v56, v53, v54                             // 00000000F5D0: D2A20038 00026D35
	v_cvt_off_f32_i4_sdwa v53, v52 dst_sel:DWORD dst_unused:UNUSED_PRESERVE src0_sel:BYTE_1// 00000000F5D8: 7E6A1CF9 00011634
	v_cvt_off_f32_i4_sdwa v54, v52 dst_sel:DWORD dst_unused:UNUSED_PRESERVE src0_sel:BYTE_3// 00000000F5E0: 7E6C1CF9 00031634
	v_cvt_pk_fp8_f32 v57, v53, v54                             // 00000000F5E8: D2A20039 00026D35
	v_lshrrev_b32_e32 v55, 4, v52                              // 00000000F5F0: 206E6884
	v_cvt_off_f32_i4_e32 v53, v55                              // 00000000F5F4: 7E6A1D37
	v_cvt_off_f32_i4_sdwa v54, v55 dst_sel:DWORD dst_unused:UNUSED_PRESERVE src0_sel:BYTE_2// 00000000F5F8: 7E6C1CF9 00021637
	v_cvt_pk_fp8_f32 v56, v53, v54 op_sel:[0,0,1]              // 00000000F600: D2A24038 00026D35
	v_cvt_off_f32_i4_sdwa v53, v55 dst_sel:DWORD dst_unused:UNUSED_PRESERVE src0_sel:BYTE_1// 00000000F608: 7E6A1CF9 00011637
	v_cvt_off_f32_i4_sdwa v54, v55 dst_sel:DWORD dst_unused:UNUSED_PRESERVE src0_sel:BYTE_3// 00000000F610: 7E6C1CF9 00031637
	v_cvt_pk_fp8_f32 v57, v53, v54 op_sel:[0,0,1]              // 00000000F618: D2A24039 00026D35
	v_accvgpr_write_b32 a82, v56                               // 00000000F620: D3D94052 18000138
	v_accvgpr_write_b32 a83, v57                               // 00000000F628: D3D94053 18000139
	s_nop 3                                                    // 00000000F630: BF800003
	v_mfma_f32_16x16x32_fp8_fp8 v[208:211], a[82:83], v[146:147], v[208:211]// 00000000F634: D3F300D0 0F432552
	buffer_load_dwordx4 a[232:235], v44, s[12:15], 0 offen     // 00000000F63C: E05C1000 8083E82C
	v_accvgpr_read_b32 v52, a106                               // 00000000F644: D3D84034 1800016A
	v_cvt_off_f32_i4_e32 v53, v52                              // 00000000F64C: 7E6A1D34
	v_cvt_off_f32_i4_sdwa v54, v52 dst_sel:DWORD dst_unused:UNUSED_PRESERVE src0_sel:BYTE_2// 00000000F650: 7E6C1CF9 00021634
	v_cvt_pk_fp8_f32 v56, v53, v54                             // 00000000F658: D2A20038 00026D35
	v_cvt_off_f32_i4_sdwa v53, v52 dst_sel:DWORD dst_unused:UNUSED_PRESERVE src0_sel:BYTE_1// 00000000F660: 7E6A1CF9 00011634
	v_cvt_off_f32_i4_sdwa v54, v52 dst_sel:DWORD dst_unused:UNUSED_PRESERVE src0_sel:BYTE_3// 00000000F668: 7E6C1CF9 00031634
	v_cvt_pk_fp8_f32 v57, v53, v54                             // 00000000F670: D2A20039 00026D35
	v_lshrrev_b32_e32 v55, 4, v52                              // 00000000F678: 206E6884
	v_cvt_off_f32_i4_e32 v53, v55                              // 00000000F67C: 7E6A1D37
	v_cvt_off_f32_i4_sdwa v54, v55 dst_sel:DWORD dst_unused:UNUSED_PRESERVE src0_sel:BYTE_2// 00000000F680: 7E6C1CF9 00021637
	v_cvt_pk_fp8_f32 v56, v53, v54 op_sel:[0,0,1]              // 00000000F688: D2A24038 00026D35
	v_cvt_off_f32_i4_sdwa v53, v55 dst_sel:DWORD dst_unused:UNUSED_PRESERVE src0_sel:BYTE_1// 00000000F690: 7E6A1CF9 00011637
	v_cvt_off_f32_i4_sdwa v54, v55 dst_sel:DWORD dst_unused:UNUSED_PRESERVE src0_sel:BYTE_3// 00000000F698: 7E6C1CF9 00031637
	v_cvt_pk_fp8_f32 v57, v53, v54 op_sel:[0,0,1]              // 00000000F6A0: D2A24039 00026D35
	v_accvgpr_write_b32 a84, v56                               // 00000000F6A8: D3D94054 18000138
	v_accvgpr_write_b32 a85, v57                               // 00000000F6B0: D3D94055 18000139
	s_nop 3                                                    // 00000000F6B8: BF800003
	v_mfma_f32_16x16x32_fp8_fp8 v[208:211], a[84:85], v[148:149], v[208:211]// 00000000F6BC: D3F300D0 0F432954
	v_accvgpr_read_b32 v52, a107                               // 00000000F6C4: D3D84034 1800016B
	v_cvt_off_f32_i4_e32 v53, v52                              // 00000000F6CC: 7E6A1D34
	v_cvt_off_f32_i4_sdwa v54, v52 dst_sel:DWORD dst_unused:UNUSED_PRESERVE src0_sel:BYTE_2// 00000000F6D0: 7E6C1CF9 00021634
	v_cvt_pk_fp8_f32 v56, v53, v54                             // 00000000F6D8: D2A20038 00026D35
	v_cvt_off_f32_i4_sdwa v53, v52 dst_sel:DWORD dst_unused:UNUSED_PRESERVE src0_sel:BYTE_1// 00000000F6E0: 7E6A1CF9 00011634
	v_cvt_off_f32_i4_sdwa v54, v52 dst_sel:DWORD dst_unused:UNUSED_PRESERVE src0_sel:BYTE_3// 00000000F6E8: 7E6C1CF9 00031634
	v_cvt_pk_fp8_f32 v57, v53, v54                             // 00000000F6F0: D2A20039 00026D35
	v_lshrrev_b32_e32 v55, 4, v52                              // 00000000F6F8: 206E6884
	v_cvt_off_f32_i4_e32 v53, v55                              // 00000000F6FC: 7E6A1D37
	v_cvt_off_f32_i4_sdwa v54, v55 dst_sel:DWORD dst_unused:UNUSED_PRESERVE src0_sel:BYTE_2// 00000000F700: 7E6C1CF9 00021637
	v_cvt_pk_fp8_f32 v56, v53, v54 op_sel:[0,0,1]              // 00000000F708: D2A24038 00026D35
	v_cvt_off_f32_i4_sdwa v53, v55 dst_sel:DWORD dst_unused:UNUSED_PRESERVE src0_sel:BYTE_1// 00000000F710: 7E6A1CF9 00011637
	v_cvt_off_f32_i4_sdwa v54, v55 dst_sel:DWORD dst_unused:UNUSED_PRESERVE src0_sel:BYTE_3// 00000000F718: 7E6C1CF9 00031637
	v_cvt_pk_fp8_f32 v57, v53, v54 op_sel:[0,0,1]              // 00000000F720: D2A24039 00026D35
	v_accvgpr_write_b32 a86, v56                               // 00000000F728: D3D94056 18000138
	v_accvgpr_write_b32 a87, v57                               // 00000000F730: D3D94057 18000139
	s_nop 3                                                    // 00000000F738: BF800003
	v_mfma_f32_16x16x32_fp8_fp8 v[208:211], a[86:87], v[150:151], v[208:211]// 00000000F73C: D3F300D0 0F432D56
	v_mfma_f32_16x16x32_fp8_fp8 v[212:215], a[80:81], v[176:177], v[212:215]// 00000000F744: D3F300D4 0F536150
	v_mfma_f32_16x16x32_fp8_fp8 v[212:215], a[82:83], v[178:179], v[212:215]// 00000000F74C: D3F300D4 0F536552
	v_mfma_f32_16x16x32_fp8_fp8 v[212:215], a[84:85], v[180:181], v[212:215]// 00000000F754: D3F300D4 0F536954
	v_mfma_f32_16x16x32_fp8_fp8 v[212:215], a[86:87], v[182:183], v[212:215]// 00000000F75C: D3F300D4 0F536D56
	v_accvgpr_read_b32 v52, a108                               // 00000000F764: D3D84034 1800016C
	v_cvt_off_f32_i4_e32 v53, v52                              // 00000000F76C: 7E6A1D34
	v_cvt_off_f32_i4_sdwa v54, v52 dst_sel:DWORD dst_unused:UNUSED_PRESERVE src0_sel:BYTE_2// 00000000F770: 7E6C1CF9 00021634
	v_cvt_pk_fp8_f32 v56, v53, v54                             // 00000000F778: D2A20038 00026D35
	v_cvt_off_f32_i4_sdwa v53, v52 dst_sel:DWORD dst_unused:UNUSED_PRESERVE src0_sel:BYTE_1// 00000000F780: 7E6A1CF9 00011634
	v_cvt_off_f32_i4_sdwa v54, v52 dst_sel:DWORD dst_unused:UNUSED_PRESERVE src0_sel:BYTE_3// 00000000F788: 7E6C1CF9 00031634
	v_cvt_pk_fp8_f32 v57, v53, v54                             // 00000000F790: D2A20039 00026D35
	v_lshrrev_b32_e32 v55, 4, v52                              // 00000000F798: 206E6884
	v_cvt_off_f32_i4_e32 v53, v55                              // 00000000F79C: 7E6A1D37
	v_cvt_off_f32_i4_sdwa v54, v55 dst_sel:DWORD dst_unused:UNUSED_PRESERVE src0_sel:BYTE_2// 00000000F7A0: 7E6C1CF9 00021637
	v_cvt_pk_fp8_f32 v56, v53, v54 op_sel:[0,0,1]              // 00000000F7A8: D2A24038 00026D35
	v_cvt_off_f32_i4_sdwa v53, v55 dst_sel:DWORD dst_unused:UNUSED_PRESERVE src0_sel:BYTE_1// 00000000F7B0: 7E6A1CF9 00011637
	v_cvt_off_f32_i4_sdwa v54, v55 dst_sel:DWORD dst_unused:UNUSED_PRESERVE src0_sel:BYTE_3// 00000000F7B8: 7E6C1CF9 00031637
	v_cvt_pk_fp8_f32 v57, v53, v54 op_sel:[0,0,1]              // 00000000F7C0: D2A24039 00026D35
	v_accvgpr_write_b32 a88, v56                               // 00000000F7C8: D3D94058 18000138
	v_accvgpr_write_b32 a89, v57                               // 00000000F7D0: D3D94059 18000139
	s_nop 3                                                    // 00000000F7D8: BF800003
	v_mfma_f32_16x16x32_fp8_fp8 v[216:219], a[88:89], v[144:145], v[216:219]// 00000000F7DC: D3F300D8 0F632158
	v_accvgpr_read_b32 v52, a109                               // 00000000F7E4: D3D84034 1800016D
	v_cvt_off_f32_i4_e32 v53, v52                              // 00000000F7EC: 7E6A1D34
	v_cvt_off_f32_i4_sdwa v54, v52 dst_sel:DWORD dst_unused:UNUSED_PRESERVE src0_sel:BYTE_2// 00000000F7F0: 7E6C1CF9 00021634
	v_cvt_pk_fp8_f32 v56, v53, v54                             // 00000000F7F8: D2A20038 00026D35
	v_cvt_off_f32_i4_sdwa v53, v52 dst_sel:DWORD dst_unused:UNUSED_PRESERVE src0_sel:BYTE_1// 00000000F800: 7E6A1CF9 00011634
	v_cvt_off_f32_i4_sdwa v54, v52 dst_sel:DWORD dst_unused:UNUSED_PRESERVE src0_sel:BYTE_3// 00000000F808: 7E6C1CF9 00031634
	v_cvt_pk_fp8_f32 v57, v53, v54                             // 00000000F810: D2A20039 00026D35
	v_lshrrev_b32_e32 v55, 4, v52                              // 00000000F818: 206E6884
	v_cvt_off_f32_i4_e32 v53, v55                              // 00000000F81C: 7E6A1D37
	v_cvt_off_f32_i4_sdwa v54, v55 dst_sel:DWORD dst_unused:UNUSED_PRESERVE src0_sel:BYTE_2// 00000000F820: 7E6C1CF9 00021637
	v_cvt_pk_fp8_f32 v56, v53, v54 op_sel:[0,0,1]              // 00000000F828: D2A24038 00026D35
	v_cvt_off_f32_i4_sdwa v53, v55 dst_sel:DWORD dst_unused:UNUSED_PRESERVE src0_sel:BYTE_1// 00000000F830: 7E6A1CF9 00011637
	v_cvt_off_f32_i4_sdwa v54, v55 dst_sel:DWORD dst_unused:UNUSED_PRESERVE src0_sel:BYTE_3// 00000000F838: 7E6C1CF9 00031637
	v_cvt_pk_fp8_f32 v57, v53, v54 op_sel:[0,0,1]              // 00000000F840: D2A24039 00026D35
	v_accvgpr_write_b32 a90, v56                               // 00000000F848: D3D9405A 18000138
	v_accvgpr_write_b32 a91, v57                               // 00000000F850: D3D9405B 18000139
	s_nop 3                                                    // 00000000F858: BF800003
	v_mfma_f32_16x16x32_fp8_fp8 v[216:219], a[90:91], v[146:147], v[216:219]// 00000000F85C: D3F300D8 0F63255A
	buffer_load_dwordx4 a[236:239], v45, s[12:15], 0 offen     // 00000000F864: E05C1000 8083EC2D
	s_add_u32 s12, s78, s12                                    // 00000000F86C: 800C0C4E
	s_addc_u32 s13, 0, s13                                     // 00000000F870: 820D0D80
	v_accvgpr_read_b32 v52, a110                               // 00000000F874: D3D84034 1800016E
	v_cvt_off_f32_i4_e32 v53, v52                              // 00000000F87C: 7E6A1D34
	v_cvt_off_f32_i4_sdwa v54, v52 dst_sel:DWORD dst_unused:UNUSED_PRESERVE src0_sel:BYTE_2// 00000000F880: 7E6C1CF9 00021634
	v_cvt_pk_fp8_f32 v56, v53, v54                             // 00000000F888: D2A20038 00026D35
	v_cvt_off_f32_i4_sdwa v53, v52 dst_sel:DWORD dst_unused:UNUSED_PRESERVE src0_sel:BYTE_1// 00000000F890: 7E6A1CF9 00011634
	v_cvt_off_f32_i4_sdwa v54, v52 dst_sel:DWORD dst_unused:UNUSED_PRESERVE src0_sel:BYTE_3// 00000000F898: 7E6C1CF9 00031634
	v_cvt_pk_fp8_f32 v57, v53, v54                             // 00000000F8A0: D2A20039 00026D35
	v_lshrrev_b32_e32 v55, 4, v52                              // 00000000F8A8: 206E6884
	v_cvt_off_f32_i4_e32 v53, v55                              // 00000000F8AC: 7E6A1D37
	v_cvt_off_f32_i4_sdwa v54, v55 dst_sel:DWORD dst_unused:UNUSED_PRESERVE src0_sel:BYTE_2// 00000000F8B0: 7E6C1CF9 00021637
	v_cvt_pk_fp8_f32 v56, v53, v54 op_sel:[0,0,1]              // 00000000F8B8: D2A24038 00026D35
	v_cvt_off_f32_i4_sdwa v53, v55 dst_sel:DWORD dst_unused:UNUSED_PRESERVE src0_sel:BYTE_1// 00000000F8C0: 7E6A1CF9 00011637
	v_cvt_off_f32_i4_sdwa v54, v55 dst_sel:DWORD dst_unused:UNUSED_PRESERVE src0_sel:BYTE_3// 00000000F8C8: 7E6C1CF9 00031637
	v_cvt_pk_fp8_f32 v57, v53, v54 op_sel:[0,0,1]              // 00000000F8D0: D2A24039 00026D35
	v_accvgpr_write_b32 a92, v56                               // 00000000F8D8: D3D9405C 18000138
	v_accvgpr_write_b32 a93, v57                               // 00000000F8E0: D3D9405D 18000139
	s_nop 3                                                    // 00000000F8E8: BF800003
	v_mfma_f32_16x16x32_fp8_fp8 v[216:219], a[92:93], v[148:149], v[216:219]// 00000000F8EC: D3F300D8 0F63295C
	v_accvgpr_read_b32 v52, a111                               // 00000000F8F4: D3D84034 1800016F
	v_cvt_off_f32_i4_e32 v53, v52                              // 00000000F8FC: 7E6A1D34
	v_cvt_off_f32_i4_sdwa v54, v52 dst_sel:DWORD dst_unused:UNUSED_PRESERVE src0_sel:BYTE_2// 00000000F900: 7E6C1CF9 00021634
	v_cvt_pk_fp8_f32 v56, v53, v54                             // 00000000F908: D2A20038 00026D35
	v_cvt_off_f32_i4_sdwa v53, v52 dst_sel:DWORD dst_unused:UNUSED_PRESERVE src0_sel:BYTE_1// 00000000F910: 7E6A1CF9 00011634
	v_cvt_off_f32_i4_sdwa v54, v52 dst_sel:DWORD dst_unused:UNUSED_PRESERVE src0_sel:BYTE_3// 00000000F918: 7E6C1CF9 00031634
	v_cvt_pk_fp8_f32 v57, v53, v54                             // 00000000F920: D2A20039 00026D35
	v_lshrrev_b32_e32 v55, 4, v52                              // 00000000F928: 206E6884
	v_cvt_off_f32_i4_e32 v53, v55                              // 00000000F92C: 7E6A1D37
	v_cvt_off_f32_i4_sdwa v54, v55 dst_sel:DWORD dst_unused:UNUSED_PRESERVE src0_sel:BYTE_2// 00000000F930: 7E6C1CF9 00021637
	v_cvt_pk_fp8_f32 v56, v53, v54 op_sel:[0,0,1]              // 00000000F938: D2A24038 00026D35
	v_cvt_off_f32_i4_sdwa v53, v55 dst_sel:DWORD dst_unused:UNUSED_PRESERVE src0_sel:BYTE_1// 00000000F940: 7E6A1CF9 00011637
	v_cvt_off_f32_i4_sdwa v54, v55 dst_sel:DWORD dst_unused:UNUSED_PRESERVE src0_sel:BYTE_3// 00000000F948: 7E6C1CF9 00031637
	v_cvt_pk_fp8_f32 v57, v53, v54 op_sel:[0,0,1]              // 00000000F950: D2A24039 00026D35
	v_accvgpr_write_b32 a94, v56                               // 00000000F958: D3D9405E 18000138
	v_accvgpr_write_b32 a95, v57                               // 00000000F960: D3D9405F 18000139
	s_nop 3                                                    // 00000000F968: BF800003
	v_mfma_f32_16x16x32_fp8_fp8 v[216:219], a[94:95], v[150:151], v[216:219]// 00000000F96C: D3F300D8 0F632D5E
	v_mfma_f32_16x16x32_fp8_fp8 v[220:223], a[88:89], v[176:177], v[220:223]// 00000000F974: D3F300DC 0F736158
	v_mfma_f32_16x16x32_fp8_fp8 v[220:223], a[90:91], v[178:179], v[220:223]// 00000000F97C: D3F300DC 0F73655A
	v_mfma_f32_16x16x32_fp8_fp8 v[220:223], a[92:93], v[180:181], v[220:223]// 00000000F984: D3F300DC 0F73695C
	v_mfma_f32_16x16x32_fp8_fp8 v[220:223], a[94:95], v[182:183], v[220:223]// 00000000F98C: D3F300DC 0F736D5E
	s_waitcnt vmcnt(28)                                        // 00000000F994: BF8C4F7C
	v_accvgpr_read_b32 v52, a112                               // 00000000F998: D3D84034 18000170
	v_cvt_off_f32_i4_e32 v53, v52                              // 00000000F9A0: 7E6A1D34
	v_cvt_off_f32_i4_sdwa v54, v52 dst_sel:DWORD dst_unused:UNUSED_PRESERVE src0_sel:BYTE_2// 00000000F9A4: 7E6C1CF9 00021634
	v_cvt_pk_fp8_f32 v56, v53, v54                             // 00000000F9AC: D2A20038 00026D35
	v_cvt_off_f32_i4_sdwa v53, v52 dst_sel:DWORD dst_unused:UNUSED_PRESERVE src0_sel:BYTE_1// 00000000F9B4: 7E6A1CF9 00011634
	v_cvt_off_f32_i4_sdwa v54, v52 dst_sel:DWORD dst_unused:UNUSED_PRESERVE src0_sel:BYTE_3// 00000000F9BC: 7E6C1CF9 00031634
	v_cvt_pk_fp8_f32 v57, v53, v54                             // 00000000F9C4: D2A20039 00026D35
	v_lshrrev_b32_e32 v55, 4, v52                              // 00000000F9CC: 206E6884
	v_cvt_off_f32_i4_e32 v53, v55                              // 00000000F9D0: 7E6A1D37
	v_cvt_off_f32_i4_sdwa v54, v55 dst_sel:DWORD dst_unused:UNUSED_PRESERVE src0_sel:BYTE_2// 00000000F9D4: 7E6C1CF9 00021637
	v_cvt_pk_fp8_f32 v56, v53, v54 op_sel:[0,0,1]              // 00000000F9DC: D2A24038 00026D35
	v_cvt_off_f32_i4_sdwa v53, v55 dst_sel:DWORD dst_unused:UNUSED_PRESERVE src0_sel:BYTE_1// 00000000F9E4: 7E6A1CF9 00011637
	v_cvt_off_f32_i4_sdwa v54, v55 dst_sel:DWORD dst_unused:UNUSED_PRESERVE src0_sel:BYTE_3// 00000000F9EC: 7E6C1CF9 00031637
	v_cvt_pk_fp8_f32 v57, v53, v54 op_sel:[0,0,1]              // 00000000F9F4: D2A24039 00026D35
	v_accvgpr_write_b32 a96, v56                               // 00000000F9FC: D3D94060 18000138
	v_accvgpr_write_b32 a97, v57                               // 00000000FA04: D3D94061 18000139
	s_nop 3                                                    // 00000000FA0C: BF800003
	v_mfma_f32_16x16x32_fp8_fp8 v[192:195], a[96:97], v[152:153], v[192:195]// 00000000FA10: D3F300C0 0F033160
	v_accvgpr_read_b32 v52, a113                               // 00000000FA18: D3D84034 18000171
	v_cvt_off_f32_i4_e32 v53, v52                              // 00000000FA20: 7E6A1D34
	v_cvt_off_f32_i4_sdwa v54, v52 dst_sel:DWORD dst_unused:UNUSED_PRESERVE src0_sel:BYTE_2// 00000000FA24: 7E6C1CF9 00021634
	v_cvt_pk_fp8_f32 v56, v53, v54                             // 00000000FA2C: D2A20038 00026D35
	v_cvt_off_f32_i4_sdwa v53, v52 dst_sel:DWORD dst_unused:UNUSED_PRESERVE src0_sel:BYTE_1// 00000000FA34: 7E6A1CF9 00011634
	v_cvt_off_f32_i4_sdwa v54, v52 dst_sel:DWORD dst_unused:UNUSED_PRESERVE src0_sel:BYTE_3// 00000000FA3C: 7E6C1CF9 00031634
	v_cvt_pk_fp8_f32 v57, v53, v54                             // 00000000FA44: D2A20039 00026D35
	v_lshrrev_b32_e32 v55, 4, v52                              // 00000000FA4C: 206E6884
	v_cvt_off_f32_i4_e32 v53, v55                              // 00000000FA50: 7E6A1D37
	v_cvt_off_f32_i4_sdwa v54, v55 dst_sel:DWORD dst_unused:UNUSED_PRESERVE src0_sel:BYTE_2// 00000000FA54: 7E6C1CF9 00021637
	v_cvt_pk_fp8_f32 v56, v53, v54 op_sel:[0,0,1]              // 00000000FA5C: D2A24038 00026D35
	v_cvt_off_f32_i4_sdwa v53, v55 dst_sel:DWORD dst_unused:UNUSED_PRESERVE src0_sel:BYTE_1// 00000000FA64: 7E6A1CF9 00011637
	v_cvt_off_f32_i4_sdwa v54, v55 dst_sel:DWORD dst_unused:UNUSED_PRESERVE src0_sel:BYTE_3// 00000000FA6C: 7E6C1CF9 00031637
	v_cvt_pk_fp8_f32 v57, v53, v54 op_sel:[0,0,1]              // 00000000FA74: D2A24039 00026D35
	v_accvgpr_write_b32 a98, v56                               // 00000000FA7C: D3D94062 18000138
	v_accvgpr_write_b32 a99, v57                               // 00000000FA84: D3D94063 18000139
	s_nop 3                                                    // 00000000FA8C: BF800003
	v_mfma_f32_16x16x32_fp8_fp8 v[192:195], a[98:99], v[154:155], v[192:195]// 00000000FA90: D3F300C0 0F033562
	buffer_load_dwordx4 a[240:243], v42, s[12:15], 0 offen     // 00000000FA98: E05C1000 8083F02A
	v_accvgpr_read_b32 v52, a114                               // 00000000FAA0: D3D84034 18000172
	v_cvt_off_f32_i4_e32 v53, v52                              // 00000000FAA8: 7E6A1D34
	v_cvt_off_f32_i4_sdwa v54, v52 dst_sel:DWORD dst_unused:UNUSED_PRESERVE src0_sel:BYTE_2// 00000000FAAC: 7E6C1CF9 00021634
	v_cvt_pk_fp8_f32 v56, v53, v54                             // 00000000FAB4: D2A20038 00026D35
	v_cvt_off_f32_i4_sdwa v53, v52 dst_sel:DWORD dst_unused:UNUSED_PRESERVE src0_sel:BYTE_1// 00000000FABC: 7E6A1CF9 00011634
	v_cvt_off_f32_i4_sdwa v54, v52 dst_sel:DWORD dst_unused:UNUSED_PRESERVE src0_sel:BYTE_3// 00000000FAC4: 7E6C1CF9 00031634
	v_cvt_pk_fp8_f32 v57, v53, v54                             // 00000000FACC: D2A20039 00026D35
	v_lshrrev_b32_e32 v55, 4, v52                              // 00000000FAD4: 206E6884
	v_cvt_off_f32_i4_e32 v53, v55                              // 00000000FAD8: 7E6A1D37
	v_cvt_off_f32_i4_sdwa v54, v55 dst_sel:DWORD dst_unused:UNUSED_PRESERVE src0_sel:BYTE_2// 00000000FADC: 7E6C1CF9 00021637
	v_cvt_pk_fp8_f32 v56, v53, v54 op_sel:[0,0,1]              // 00000000FAE4: D2A24038 00026D35
	v_cvt_off_f32_i4_sdwa v53, v55 dst_sel:DWORD dst_unused:UNUSED_PRESERVE src0_sel:BYTE_1// 00000000FAEC: 7E6A1CF9 00011637
	v_cvt_off_f32_i4_sdwa v54, v55 dst_sel:DWORD dst_unused:UNUSED_PRESERVE src0_sel:BYTE_3// 00000000FAF4: 7E6C1CF9 00031637
	v_cvt_pk_fp8_f32 v57, v53, v54 op_sel:[0,0,1]              // 00000000FAFC: D2A24039 00026D35
	v_accvgpr_write_b32 a100, v56                              // 00000000FB04: D3D94064 18000138
	v_accvgpr_write_b32 a101, v57                              // 00000000FB0C: D3D94065 18000139
	s_nop 3                                                    // 00000000FB14: BF800003
	v_mfma_f32_16x16x32_fp8_fp8 v[192:195], a[100:101], v[156:157], v[192:195]// 00000000FB18: D3F300C0 0F033964
	v_accvgpr_read_b32 v52, a115                               // 00000000FB20: D3D84034 18000173
	v_cvt_off_f32_i4_e32 v53, v52                              // 00000000FB28: 7E6A1D34
	v_cvt_off_f32_i4_sdwa v54, v52 dst_sel:DWORD dst_unused:UNUSED_PRESERVE src0_sel:BYTE_2// 00000000FB2C: 7E6C1CF9 00021634
	v_cvt_pk_fp8_f32 v56, v53, v54                             // 00000000FB34: D2A20038 00026D35
	v_cvt_off_f32_i4_sdwa v53, v52 dst_sel:DWORD dst_unused:UNUSED_PRESERVE src0_sel:BYTE_1// 00000000FB3C: 7E6A1CF9 00011634
	v_cvt_off_f32_i4_sdwa v54, v52 dst_sel:DWORD dst_unused:UNUSED_PRESERVE src0_sel:BYTE_3// 00000000FB44: 7E6C1CF9 00031634
	v_cvt_pk_fp8_f32 v57, v53, v54                             // 00000000FB4C: D2A20039 00026D35
	v_lshrrev_b32_e32 v55, 4, v52                              // 00000000FB54: 206E6884
	v_cvt_off_f32_i4_e32 v53, v55                              // 00000000FB58: 7E6A1D37
	v_cvt_off_f32_i4_sdwa v54, v55 dst_sel:DWORD dst_unused:UNUSED_PRESERVE src0_sel:BYTE_2// 00000000FB5C: 7E6C1CF9 00021637
	v_cvt_pk_fp8_f32 v56, v53, v54 op_sel:[0,0,1]              // 00000000FB64: D2A24038 00026D35
	v_cvt_off_f32_i4_sdwa v53, v55 dst_sel:DWORD dst_unused:UNUSED_PRESERVE src0_sel:BYTE_1// 00000000FB6C: 7E6A1CF9 00011637
	v_cvt_off_f32_i4_sdwa v54, v55 dst_sel:DWORD dst_unused:UNUSED_PRESERVE src0_sel:BYTE_3// 00000000FB74: 7E6C1CF9 00031637
	v_cvt_pk_fp8_f32 v57, v53, v54 op_sel:[0,0,1]              // 00000000FB7C: D2A24039 00026D35
	v_accvgpr_write_b32 a102, v56                              // 00000000FB84: D3D94066 18000138
	v_accvgpr_write_b32 a103, v57                              // 00000000FB8C: D3D94067 18000139
	s_nop 3                                                    // 00000000FB94: BF800003
	v_mfma_f32_16x16x32_fp8_fp8 v[192:195], a[102:103], v[158:159], v[192:195]// 00000000FB98: D3F300C0 0F033D66
	v_mfma_f32_16x16x32_fp8_fp8 v[196:199], a[96:97], v[184:185], v[196:199]// 00000000FBA0: D3F300C4 0F137160
	v_mfma_f32_16x16x32_fp8_fp8 v[196:199], a[98:99], v[186:187], v[196:199]// 00000000FBA8: D3F300C4 0F137562
	v_mfma_f32_16x16x32_fp8_fp8 v[196:199], a[100:101], v[188:189], v[196:199]// 00000000FBB0: D3F300C4 0F137964
	v_mfma_f32_16x16x32_fp8_fp8 v[196:199], a[102:103], v[190:191], v[196:199]// 00000000FBB8: D3F300C4 0F137D66
	v_accvgpr_read_b32 v52, a116                               // 00000000FBC0: D3D84034 18000174
	v_cvt_off_f32_i4_e32 v53, v52                              // 00000000FBC8: 7E6A1D34
	v_cvt_off_f32_i4_sdwa v54, v52 dst_sel:DWORD dst_unused:UNUSED_PRESERVE src0_sel:BYTE_2// 00000000FBCC: 7E6C1CF9 00021634
	v_cvt_pk_fp8_f32 v56, v53, v54                             // 00000000FBD4: D2A20038 00026D35
	v_cvt_off_f32_i4_sdwa v53, v52 dst_sel:DWORD dst_unused:UNUSED_PRESERVE src0_sel:BYTE_1// 00000000FBDC: 7E6A1CF9 00011634
	v_cvt_off_f32_i4_sdwa v54, v52 dst_sel:DWORD dst_unused:UNUSED_PRESERVE src0_sel:BYTE_3// 00000000FBE4: 7E6C1CF9 00031634
	v_cvt_pk_fp8_f32 v57, v53, v54                             // 00000000FBEC: D2A20039 00026D35
	v_lshrrev_b32_e32 v55, 4, v52                              // 00000000FBF4: 206E6884
	v_cvt_off_f32_i4_e32 v53, v55                              // 00000000FBF8: 7E6A1D37
	v_cvt_off_f32_i4_sdwa v54, v55 dst_sel:DWORD dst_unused:UNUSED_PRESERVE src0_sel:BYTE_2// 00000000FBFC: 7E6C1CF9 00021637
	v_cvt_pk_fp8_f32 v56, v53, v54 op_sel:[0,0,1]              // 00000000FC04: D2A24038 00026D35
	v_cvt_off_f32_i4_sdwa v53, v55 dst_sel:DWORD dst_unused:UNUSED_PRESERVE src0_sel:BYTE_1// 00000000FC0C: 7E6A1CF9 00011637
	v_cvt_off_f32_i4_sdwa v54, v55 dst_sel:DWORD dst_unused:UNUSED_PRESERVE src0_sel:BYTE_3// 00000000FC14: 7E6C1CF9 00031637
	v_cvt_pk_fp8_f32 v57, v53, v54 op_sel:[0,0,1]              // 00000000FC1C: D2A24039 00026D35
	v_accvgpr_write_b32 a104, v56                              // 00000000FC24: D3D94068 18000138
	v_accvgpr_write_b32 a105, v57                              // 00000000FC2C: D3D94069 18000139
	s_nop 3                                                    // 00000000FC34: BF800003
	v_mfma_f32_16x16x32_fp8_fp8 v[200:203], a[104:105], v[152:153], v[200:203]// 00000000FC38: D3F300C8 0F233168
	v_accvgpr_read_b32 v52, a117                               // 00000000FC40: D3D84034 18000175
	v_cvt_off_f32_i4_e32 v53, v52                              // 00000000FC48: 7E6A1D34
	v_cvt_off_f32_i4_sdwa v54, v52 dst_sel:DWORD dst_unused:UNUSED_PRESERVE src0_sel:BYTE_2// 00000000FC4C: 7E6C1CF9 00021634
	v_cvt_pk_fp8_f32 v56, v53, v54                             // 00000000FC54: D2A20038 00026D35
	v_cvt_off_f32_i4_sdwa v53, v52 dst_sel:DWORD dst_unused:UNUSED_PRESERVE src0_sel:BYTE_1// 00000000FC5C: 7E6A1CF9 00011634
	v_cvt_off_f32_i4_sdwa v54, v52 dst_sel:DWORD dst_unused:UNUSED_PRESERVE src0_sel:BYTE_3// 00000000FC64: 7E6C1CF9 00031634
	v_cvt_pk_fp8_f32 v57, v53, v54                             // 00000000FC6C: D2A20039 00026D35
	v_lshrrev_b32_e32 v55, 4, v52                              // 00000000FC74: 206E6884
	v_cvt_off_f32_i4_e32 v53, v55                              // 00000000FC78: 7E6A1D37
	v_cvt_off_f32_i4_sdwa v54, v55 dst_sel:DWORD dst_unused:UNUSED_PRESERVE src0_sel:BYTE_2// 00000000FC7C: 7E6C1CF9 00021637
	v_cvt_pk_fp8_f32 v56, v53, v54 op_sel:[0,0,1]              // 00000000FC84: D2A24038 00026D35
	v_cvt_off_f32_i4_sdwa v53, v55 dst_sel:DWORD dst_unused:UNUSED_PRESERVE src0_sel:BYTE_1// 00000000FC8C: 7E6A1CF9 00011637
	v_cvt_off_f32_i4_sdwa v54, v55 dst_sel:DWORD dst_unused:UNUSED_PRESERVE src0_sel:BYTE_3// 00000000FC94: 7E6C1CF9 00031637
	v_cvt_pk_fp8_f32 v57, v53, v54 op_sel:[0,0,1]              // 00000000FC9C: D2A24039 00026D35
	v_accvgpr_write_b32 a106, v56                              // 00000000FCA4: D3D9406A 18000138
	v_accvgpr_write_b32 a107, v57                              // 00000000FCAC: D3D9406B 18000139
	s_nop 3                                                    // 00000000FCB4: BF800003
	v_mfma_f32_16x16x32_fp8_fp8 v[200:203], a[106:107], v[154:155], v[200:203]// 00000000FCB8: D3F300C8 0F23356A
	buffer_load_dwordx4 a[244:247], v43, s[12:15], 0 offen     // 00000000FCC0: E05C1000 8083F42B
	v_accvgpr_read_b32 v52, a118                               // 00000000FCC8: D3D84034 18000176
	v_cvt_off_f32_i4_e32 v53, v52                              // 00000000FCD0: 7E6A1D34
	v_cvt_off_f32_i4_sdwa v54, v52 dst_sel:DWORD dst_unused:UNUSED_PRESERVE src0_sel:BYTE_2// 00000000FCD4: 7E6C1CF9 00021634
	v_cvt_pk_fp8_f32 v56, v53, v54                             // 00000000FCDC: D2A20038 00026D35
	v_cvt_off_f32_i4_sdwa v53, v52 dst_sel:DWORD dst_unused:UNUSED_PRESERVE src0_sel:BYTE_1// 00000000FCE4: 7E6A1CF9 00011634
	v_cvt_off_f32_i4_sdwa v54, v52 dst_sel:DWORD dst_unused:UNUSED_PRESERVE src0_sel:BYTE_3// 00000000FCEC: 7E6C1CF9 00031634
	v_cvt_pk_fp8_f32 v57, v53, v54                             // 00000000FCF4: D2A20039 00026D35
	v_lshrrev_b32_e32 v55, 4, v52                              // 00000000FCFC: 206E6884
	v_cvt_off_f32_i4_e32 v53, v55                              // 00000000FD00: 7E6A1D37
	v_cvt_off_f32_i4_sdwa v54, v55 dst_sel:DWORD dst_unused:UNUSED_PRESERVE src0_sel:BYTE_2// 00000000FD04: 7E6C1CF9 00021637
	v_cvt_pk_fp8_f32 v56, v53, v54 op_sel:[0,0,1]              // 00000000FD0C: D2A24038 00026D35
	v_cvt_off_f32_i4_sdwa v53, v55 dst_sel:DWORD dst_unused:UNUSED_PRESERVE src0_sel:BYTE_1// 00000000FD14: 7E6A1CF9 00011637
	v_cvt_off_f32_i4_sdwa v54, v55 dst_sel:DWORD dst_unused:UNUSED_PRESERVE src0_sel:BYTE_3// 00000000FD1C: 7E6C1CF9 00031637
	v_cvt_pk_fp8_f32 v57, v53, v54 op_sel:[0,0,1]              // 00000000FD24: D2A24039 00026D35
	v_accvgpr_write_b32 a108, v56                              // 00000000FD2C: D3D9406C 18000138
	v_accvgpr_write_b32 a109, v57                              // 00000000FD34: D3D9406D 18000139
	s_nop 3                                                    // 00000000FD3C: BF800003
	v_mfma_f32_16x16x32_fp8_fp8 v[200:203], a[108:109], v[156:157], v[200:203]// 00000000FD40: D3F300C8 0F23396C
	v_accvgpr_read_b32 v52, a119                               // 00000000FD48: D3D84034 18000177
	v_cvt_off_f32_i4_e32 v53, v52                              // 00000000FD50: 7E6A1D34
	v_cvt_off_f32_i4_sdwa v54, v52 dst_sel:DWORD dst_unused:UNUSED_PRESERVE src0_sel:BYTE_2// 00000000FD54: 7E6C1CF9 00021634
	v_cvt_pk_fp8_f32 v56, v53, v54                             // 00000000FD5C: D2A20038 00026D35
	v_cvt_off_f32_i4_sdwa v53, v52 dst_sel:DWORD dst_unused:UNUSED_PRESERVE src0_sel:BYTE_1// 00000000FD64: 7E6A1CF9 00011634
	v_cvt_off_f32_i4_sdwa v54, v52 dst_sel:DWORD dst_unused:UNUSED_PRESERVE src0_sel:BYTE_3// 00000000FD6C: 7E6C1CF9 00031634
	v_cvt_pk_fp8_f32 v57, v53, v54                             // 00000000FD74: D2A20039 00026D35
	v_lshrrev_b32_e32 v55, 4, v52                              // 00000000FD7C: 206E6884
	v_cvt_off_f32_i4_e32 v53, v55                              // 00000000FD80: 7E6A1D37
	v_cvt_off_f32_i4_sdwa v54, v55 dst_sel:DWORD dst_unused:UNUSED_PRESERVE src0_sel:BYTE_2// 00000000FD84: 7E6C1CF9 00021637
	v_cvt_pk_fp8_f32 v56, v53, v54 op_sel:[0,0,1]              // 00000000FD8C: D2A24038 00026D35
	v_cvt_off_f32_i4_sdwa v53, v55 dst_sel:DWORD dst_unused:UNUSED_PRESERVE src0_sel:BYTE_1// 00000000FD94: 7E6A1CF9 00011637
	v_cvt_off_f32_i4_sdwa v54, v55 dst_sel:DWORD dst_unused:UNUSED_PRESERVE src0_sel:BYTE_3// 00000000FD9C: 7E6C1CF9 00031637
	v_cvt_pk_fp8_f32 v57, v53, v54 op_sel:[0,0,1]              // 00000000FDA4: D2A24039 00026D35
	v_accvgpr_write_b32 a110, v56                              // 00000000FDAC: D3D9406E 18000138
	v_accvgpr_write_b32 a111, v57                              // 00000000FDB4: D3D9406F 18000139
	s_nop 3                                                    // 00000000FDBC: BF800003
	v_mfma_f32_16x16x32_fp8_fp8 v[200:203], a[110:111], v[158:159], v[200:203]// 00000000FDC0: D3F300C8 0F233D6E
	v_mfma_f32_16x16x32_fp8_fp8 v[204:207], a[104:105], v[184:185], v[204:207]// 00000000FDC8: D3F300CC 0F337168
	v_mfma_f32_16x16x32_fp8_fp8 v[204:207], a[106:107], v[186:187], v[204:207]// 00000000FDD0: D3F300CC 0F33756A
	v_mfma_f32_16x16x32_fp8_fp8 v[204:207], a[108:109], v[188:189], v[204:207]// 00000000FDD8: D3F300CC 0F33796C
	v_mfma_f32_16x16x32_fp8_fp8 v[204:207], a[110:111], v[190:191], v[204:207]// 00000000FDE0: D3F300CC 0F337D6E
	v_accvgpr_read_b32 v52, a120                               // 00000000FDE8: D3D84034 18000178
	v_cvt_off_f32_i4_e32 v53, v52                              // 00000000FDF0: 7E6A1D34
	v_cvt_off_f32_i4_sdwa v54, v52 dst_sel:DWORD dst_unused:UNUSED_PRESERVE src0_sel:BYTE_2// 00000000FDF4: 7E6C1CF9 00021634
	v_cvt_pk_fp8_f32 v56, v53, v54                             // 00000000FDFC: D2A20038 00026D35
	v_cvt_off_f32_i4_sdwa v53, v52 dst_sel:DWORD dst_unused:UNUSED_PRESERVE src0_sel:BYTE_1// 00000000FE04: 7E6A1CF9 00011634
	v_cvt_off_f32_i4_sdwa v54, v52 dst_sel:DWORD dst_unused:UNUSED_PRESERVE src0_sel:BYTE_3// 00000000FE0C: 7E6C1CF9 00031634
	v_cvt_pk_fp8_f32 v57, v53, v54                             // 00000000FE14: D2A20039 00026D35
	v_lshrrev_b32_e32 v55, 4, v52                              // 00000000FE1C: 206E6884
	v_cvt_off_f32_i4_e32 v53, v55                              // 00000000FE20: 7E6A1D37
	v_cvt_off_f32_i4_sdwa v54, v55 dst_sel:DWORD dst_unused:UNUSED_PRESERVE src0_sel:BYTE_2// 00000000FE24: 7E6C1CF9 00021637
	v_cvt_pk_fp8_f32 v56, v53, v54 op_sel:[0,0,1]              // 00000000FE2C: D2A24038 00026D35
	v_cvt_off_f32_i4_sdwa v53, v55 dst_sel:DWORD dst_unused:UNUSED_PRESERVE src0_sel:BYTE_1// 00000000FE34: 7E6A1CF9 00011637
	v_cvt_off_f32_i4_sdwa v54, v55 dst_sel:DWORD dst_unused:UNUSED_PRESERVE src0_sel:BYTE_3// 00000000FE3C: 7E6C1CF9 00031637
	v_cvt_pk_fp8_f32 v57, v53, v54 op_sel:[0,0,1]              // 00000000FE44: D2A24039 00026D35
	v_accvgpr_write_b32 a112, v56                              // 00000000FE4C: D3D94070 18000138
	v_accvgpr_write_b32 a113, v57                              // 00000000FE54: D3D94071 18000139
	s_nop 3                                                    // 00000000FE5C: BF800003
	v_mfma_f32_16x16x32_fp8_fp8 v[208:211], a[112:113], v[152:153], v[208:211]// 00000000FE60: D3F300D0 0F433170
	v_accvgpr_read_b32 v52, a121                               // 00000000FE68: D3D84034 18000179
	v_cvt_off_f32_i4_e32 v53, v52                              // 00000000FE70: 7E6A1D34
	v_cvt_off_f32_i4_sdwa v54, v52 dst_sel:DWORD dst_unused:UNUSED_PRESERVE src0_sel:BYTE_2// 00000000FE74: 7E6C1CF9 00021634
	v_cvt_pk_fp8_f32 v56, v53, v54                             // 00000000FE7C: D2A20038 00026D35
	v_cvt_off_f32_i4_sdwa v53, v52 dst_sel:DWORD dst_unused:UNUSED_PRESERVE src0_sel:BYTE_1// 00000000FE84: 7E6A1CF9 00011634
	v_cvt_off_f32_i4_sdwa v54, v52 dst_sel:DWORD dst_unused:UNUSED_PRESERVE src0_sel:BYTE_3// 00000000FE8C: 7E6C1CF9 00031634
	v_cvt_pk_fp8_f32 v57, v53, v54                             // 00000000FE94: D2A20039 00026D35
	v_lshrrev_b32_e32 v55, 4, v52                              // 00000000FE9C: 206E6884
	v_cvt_off_f32_i4_e32 v53, v55                              // 00000000FEA0: 7E6A1D37
	v_cvt_off_f32_i4_sdwa v54, v55 dst_sel:DWORD dst_unused:UNUSED_PRESERVE src0_sel:BYTE_2// 00000000FEA4: 7E6C1CF9 00021637
	v_cvt_pk_fp8_f32 v56, v53, v54 op_sel:[0,0,1]              // 00000000FEAC: D2A24038 00026D35
	v_cvt_off_f32_i4_sdwa v53, v55 dst_sel:DWORD dst_unused:UNUSED_PRESERVE src0_sel:BYTE_1// 00000000FEB4: 7E6A1CF9 00011637
	v_cvt_off_f32_i4_sdwa v54, v55 dst_sel:DWORD dst_unused:UNUSED_PRESERVE src0_sel:BYTE_3// 00000000FEBC: 7E6C1CF9 00031637
	v_cvt_pk_fp8_f32 v57, v53, v54 op_sel:[0,0,1]              // 00000000FEC4: D2A24039 00026D35
	v_accvgpr_write_b32 a114, v56                              // 00000000FECC: D3D94072 18000138
	v_accvgpr_write_b32 a115, v57                              // 00000000FED4: D3D94073 18000139
	s_nop 3                                                    // 00000000FEDC: BF800003
	v_mfma_f32_16x16x32_fp8_fp8 v[208:211], a[114:115], v[154:155], v[208:211]// 00000000FEE0: D3F300D0 0F433572
	buffer_load_dwordx4 a[248:251], v44, s[12:15], 0 offen     // 00000000FEE8: E05C1000 8083F82C
	v_accvgpr_read_b32 v52, a122                               // 00000000FEF0: D3D84034 1800017A
	v_cvt_off_f32_i4_e32 v53, v52                              // 00000000FEF8: 7E6A1D34
	v_cvt_off_f32_i4_sdwa v54, v52 dst_sel:DWORD dst_unused:UNUSED_PRESERVE src0_sel:BYTE_2// 00000000FEFC: 7E6C1CF9 00021634
	v_cvt_pk_fp8_f32 v56, v53, v54                             // 00000000FF04: D2A20038 00026D35
	v_cvt_off_f32_i4_sdwa v53, v52 dst_sel:DWORD dst_unused:UNUSED_PRESERVE src0_sel:BYTE_1// 00000000FF0C: 7E6A1CF9 00011634
	v_cvt_off_f32_i4_sdwa v54, v52 dst_sel:DWORD dst_unused:UNUSED_PRESERVE src0_sel:BYTE_3// 00000000FF14: 7E6C1CF9 00031634
	v_cvt_pk_fp8_f32 v57, v53, v54                             // 00000000FF1C: D2A20039 00026D35
	v_lshrrev_b32_e32 v55, 4, v52                              // 00000000FF24: 206E6884
	v_cvt_off_f32_i4_e32 v53, v55                              // 00000000FF28: 7E6A1D37
	v_cvt_off_f32_i4_sdwa v54, v55 dst_sel:DWORD dst_unused:UNUSED_PRESERVE src0_sel:BYTE_2// 00000000FF2C: 7E6C1CF9 00021637
	v_cvt_pk_fp8_f32 v56, v53, v54 op_sel:[0,0,1]              // 00000000FF34: D2A24038 00026D35
	v_cvt_off_f32_i4_sdwa v53, v55 dst_sel:DWORD dst_unused:UNUSED_PRESERVE src0_sel:BYTE_1// 00000000FF3C: 7E6A1CF9 00011637
	v_cvt_off_f32_i4_sdwa v54, v55 dst_sel:DWORD dst_unused:UNUSED_PRESERVE src0_sel:BYTE_3// 00000000FF44: 7E6C1CF9 00031637
	v_cvt_pk_fp8_f32 v57, v53, v54 op_sel:[0,0,1]              // 00000000FF4C: D2A24039 00026D35
	v_accvgpr_write_b32 a116, v56                              // 00000000FF54: D3D94074 18000138
	v_accvgpr_write_b32 a117, v57                              // 00000000FF5C: D3D94075 18000139
	s_nop 3                                                    // 00000000FF64: BF800003
	v_mfma_f32_16x16x32_fp8_fp8 v[208:211], a[116:117], v[156:157], v[208:211]// 00000000FF68: D3F300D0 0F433974
	v_accvgpr_read_b32 v52, a123                               // 00000000FF70: D3D84034 1800017B
	v_cvt_off_f32_i4_e32 v53, v52                              // 00000000FF78: 7E6A1D34
	v_cvt_off_f32_i4_sdwa v54, v52 dst_sel:DWORD dst_unused:UNUSED_PRESERVE src0_sel:BYTE_2// 00000000FF7C: 7E6C1CF9 00021634
	v_cvt_pk_fp8_f32 v56, v53, v54                             // 00000000FF84: D2A20038 00026D35
	v_cvt_off_f32_i4_sdwa v53, v52 dst_sel:DWORD dst_unused:UNUSED_PRESERVE src0_sel:BYTE_1// 00000000FF8C: 7E6A1CF9 00011634
	v_cvt_off_f32_i4_sdwa v54, v52 dst_sel:DWORD dst_unused:UNUSED_PRESERVE src0_sel:BYTE_3// 00000000FF94: 7E6C1CF9 00031634
	v_cvt_pk_fp8_f32 v57, v53, v54                             // 00000000FF9C: D2A20039 00026D35
	v_lshrrev_b32_e32 v55, 4, v52                              // 00000000FFA4: 206E6884
	v_cvt_off_f32_i4_e32 v53, v55                              // 00000000FFA8: 7E6A1D37
	v_cvt_off_f32_i4_sdwa v54, v55 dst_sel:DWORD dst_unused:UNUSED_PRESERVE src0_sel:BYTE_2// 00000000FFAC: 7E6C1CF9 00021637
	v_cvt_pk_fp8_f32 v56, v53, v54 op_sel:[0,0,1]              // 00000000FFB4: D2A24038 00026D35
	v_cvt_off_f32_i4_sdwa v53, v55 dst_sel:DWORD dst_unused:UNUSED_PRESERVE src0_sel:BYTE_1// 00000000FFBC: 7E6A1CF9 00011637
	v_cvt_off_f32_i4_sdwa v54, v55 dst_sel:DWORD dst_unused:UNUSED_PRESERVE src0_sel:BYTE_3// 00000000FFC4: 7E6C1CF9 00031637
	v_cvt_pk_fp8_f32 v57, v53, v54 op_sel:[0,0,1]              // 00000000FFCC: D2A24039 00026D35
	v_accvgpr_write_b32 a118, v56                              // 00000000FFD4: D3D94076 18000138
	v_accvgpr_write_b32 a119, v57                              // 00000000FFDC: D3D94077 18000139
	s_nop 3                                                    // 00000000FFE4: BF800003
	v_mfma_f32_16x16x32_fp8_fp8 v[208:211], a[118:119], v[158:159], v[208:211]// 00000000FFE8: D3F300D0 0F433D76
	v_mfma_f32_16x16x32_fp8_fp8 v[212:215], a[112:113], v[184:185], v[212:215]// 00000000FFF0: D3F300D4 0F537170
	v_mfma_f32_16x16x32_fp8_fp8 v[212:215], a[114:115], v[186:187], v[212:215]// 00000000FFF8: D3F300D4 0F537572
	v_mfma_f32_16x16x32_fp8_fp8 v[212:215], a[116:117], v[188:189], v[212:215]// 000000010000: D3F300D4 0F537974
	v_mfma_f32_16x16x32_fp8_fp8 v[212:215], a[118:119], v[190:191], v[212:215]// 000000010008: D3F300D4 0F537D76
	v_accvgpr_read_b32 v52, a124                               // 000000010010: D3D84034 1800017C
	v_cvt_off_f32_i4_e32 v53, v52                              // 000000010018: 7E6A1D34
	v_cvt_off_f32_i4_sdwa v54, v52 dst_sel:DWORD dst_unused:UNUSED_PRESERVE src0_sel:BYTE_2// 00000001001C: 7E6C1CF9 00021634
	v_cvt_pk_fp8_f32 v56, v53, v54                             // 000000010024: D2A20038 00026D35
	v_cvt_off_f32_i4_sdwa v53, v52 dst_sel:DWORD dst_unused:UNUSED_PRESERVE src0_sel:BYTE_1// 00000001002C: 7E6A1CF9 00011634
	v_cvt_off_f32_i4_sdwa v54, v52 dst_sel:DWORD dst_unused:UNUSED_PRESERVE src0_sel:BYTE_3// 000000010034: 7E6C1CF9 00031634
	v_cvt_pk_fp8_f32 v57, v53, v54                             // 00000001003C: D2A20039 00026D35
	v_lshrrev_b32_e32 v55, 4, v52                              // 000000010044: 206E6884
	v_cvt_off_f32_i4_e32 v53, v55                              // 000000010048: 7E6A1D37
	v_cvt_off_f32_i4_sdwa v54, v55 dst_sel:DWORD dst_unused:UNUSED_PRESERVE src0_sel:BYTE_2// 00000001004C: 7E6C1CF9 00021637
	v_cvt_pk_fp8_f32 v56, v53, v54 op_sel:[0,0,1]              // 000000010054: D2A24038 00026D35
	v_cvt_off_f32_i4_sdwa v53, v55 dst_sel:DWORD dst_unused:UNUSED_PRESERVE src0_sel:BYTE_1// 00000001005C: 7E6A1CF9 00011637
	v_cvt_off_f32_i4_sdwa v54, v55 dst_sel:DWORD dst_unused:UNUSED_PRESERVE src0_sel:BYTE_3// 000000010064: 7E6C1CF9 00031637
	v_cvt_pk_fp8_f32 v57, v53, v54 op_sel:[0,0,1]              // 00000001006C: D2A24039 00026D35
	v_accvgpr_write_b32 a120, v56                              // 000000010074: D3D94078 18000138
	v_accvgpr_write_b32 a121, v57                              // 00000001007C: D3D94079 18000139
	s_nop 3                                                    // 000000010084: BF800003
	v_mfma_f32_16x16x32_fp8_fp8 v[216:219], a[120:121], v[152:153], v[216:219]// 000000010088: D3F300D8 0F633178
	v_accvgpr_read_b32 v52, a125                               // 000000010090: D3D84034 1800017D
	v_cvt_off_f32_i4_e32 v53, v52                              // 000000010098: 7E6A1D34
	v_cvt_off_f32_i4_sdwa v54, v52 dst_sel:DWORD dst_unused:UNUSED_PRESERVE src0_sel:BYTE_2// 00000001009C: 7E6C1CF9 00021634
	v_cvt_pk_fp8_f32 v56, v53, v54                             // 0000000100A4: D2A20038 00026D35
	v_cvt_off_f32_i4_sdwa v53, v52 dst_sel:DWORD dst_unused:UNUSED_PRESERVE src0_sel:BYTE_1// 0000000100AC: 7E6A1CF9 00011634
	v_cvt_off_f32_i4_sdwa v54, v52 dst_sel:DWORD dst_unused:UNUSED_PRESERVE src0_sel:BYTE_3// 0000000100B4: 7E6C1CF9 00031634
	v_cvt_pk_fp8_f32 v57, v53, v54                             // 0000000100BC: D2A20039 00026D35
	v_lshrrev_b32_e32 v55, 4, v52                              // 0000000100C4: 206E6884
	v_cvt_off_f32_i4_e32 v53, v55                              // 0000000100C8: 7E6A1D37
	v_cvt_off_f32_i4_sdwa v54, v55 dst_sel:DWORD dst_unused:UNUSED_PRESERVE src0_sel:BYTE_2// 0000000100CC: 7E6C1CF9 00021637
	v_cvt_pk_fp8_f32 v56, v53, v54 op_sel:[0,0,1]              // 0000000100D4: D2A24038 00026D35
	v_cvt_off_f32_i4_sdwa v53, v55 dst_sel:DWORD dst_unused:UNUSED_PRESERVE src0_sel:BYTE_1// 0000000100DC: 7E6A1CF9 00011637
	v_cvt_off_f32_i4_sdwa v54, v55 dst_sel:DWORD dst_unused:UNUSED_PRESERVE src0_sel:BYTE_3// 0000000100E4: 7E6C1CF9 00031637
	v_cvt_pk_fp8_f32 v57, v53, v54 op_sel:[0,0,1]              // 0000000100EC: D2A24039 00026D35
	v_accvgpr_write_b32 a122, v56                              // 0000000100F4: D3D9407A 18000138
	v_accvgpr_write_b32 a123, v57                              // 0000000100FC: D3D9407B 18000139
	s_nop 3                                                    // 000000010104: BF800003
	v_mfma_f32_16x16x32_fp8_fp8 v[216:219], a[122:123], v[154:155], v[216:219]// 000000010108: D3F300D8 0F63357A
	buffer_load_dwordx4 a[252:255], v45, s[12:15], 0 offen     // 000000010110: E05C1000 8083FC2D
	v_accvgpr_read_b32 v52, a126                               // 000000010118: D3D84034 1800017E
	v_cvt_off_f32_i4_e32 v53, v52                              // 000000010120: 7E6A1D34
	v_cvt_off_f32_i4_sdwa v54, v52 dst_sel:DWORD dst_unused:UNUSED_PRESERVE src0_sel:BYTE_2// 000000010124: 7E6C1CF9 00021634
	v_cvt_pk_fp8_f32 v56, v53, v54                             // 00000001012C: D2A20038 00026D35
	v_cvt_off_f32_i4_sdwa v53, v52 dst_sel:DWORD dst_unused:UNUSED_PRESERVE src0_sel:BYTE_1// 000000010134: 7E6A1CF9 00011634
	v_cvt_off_f32_i4_sdwa v54, v52 dst_sel:DWORD dst_unused:UNUSED_PRESERVE src0_sel:BYTE_3// 00000001013C: 7E6C1CF9 00031634
	v_cvt_pk_fp8_f32 v57, v53, v54                             // 000000010144: D2A20039 00026D35
	v_lshrrev_b32_e32 v55, 4, v52                              // 00000001014C: 206E6884
	v_cvt_off_f32_i4_e32 v53, v55                              // 000000010150: 7E6A1D37
	v_cvt_off_f32_i4_sdwa v54, v55 dst_sel:DWORD dst_unused:UNUSED_PRESERVE src0_sel:BYTE_2// 000000010154: 7E6C1CF9 00021637
	v_cvt_pk_fp8_f32 v56, v53, v54 op_sel:[0,0,1]              // 00000001015C: D2A24038 00026D35
	v_cvt_off_f32_i4_sdwa v53, v55 dst_sel:DWORD dst_unused:UNUSED_PRESERVE src0_sel:BYTE_1// 000000010164: 7E6A1CF9 00011637
	v_cvt_off_f32_i4_sdwa v54, v55 dst_sel:DWORD dst_unused:UNUSED_PRESERVE src0_sel:BYTE_3// 00000001016C: 7E6C1CF9 00031637
	v_cvt_pk_fp8_f32 v57, v53, v54 op_sel:[0,0,1]              // 000000010174: D2A24039 00026D35
	v_accvgpr_write_b32 a124, v56                              // 00000001017C: D3D9407C 18000138
	v_accvgpr_write_b32 a125, v57                              // 000000010184: D3D9407D 18000139
	s_nop 3                                                    // 00000001018C: BF800003
	v_mfma_f32_16x16x32_fp8_fp8 v[216:219], a[124:125], v[156:157], v[216:219]// 000000010190: D3F300D8 0F63397C
	v_accvgpr_read_b32 v52, a127                               // 000000010198: D3D84034 1800017F
	v_cvt_off_f32_i4_e32 v53, v52                              // 0000000101A0: 7E6A1D34
	v_cvt_off_f32_i4_sdwa v54, v52 dst_sel:DWORD dst_unused:UNUSED_PRESERVE src0_sel:BYTE_2// 0000000101A4: 7E6C1CF9 00021634
	v_cvt_pk_fp8_f32 v56, v53, v54                             // 0000000101AC: D2A20038 00026D35
	v_cvt_off_f32_i4_sdwa v53, v52 dst_sel:DWORD dst_unused:UNUSED_PRESERVE src0_sel:BYTE_1// 0000000101B4: 7E6A1CF9 00011634
	v_cvt_off_f32_i4_sdwa v54, v52 dst_sel:DWORD dst_unused:UNUSED_PRESERVE src0_sel:BYTE_3// 0000000101BC: 7E6C1CF9 00031634
	v_cvt_pk_fp8_f32 v57, v53, v54                             // 0000000101C4: D2A20039 00026D35
	v_lshrrev_b32_e32 v55, 4, v52                              // 0000000101CC: 206E6884
	v_cvt_off_f32_i4_e32 v53, v55                              // 0000000101D0: 7E6A1D37
	v_cvt_off_f32_i4_sdwa v54, v55 dst_sel:DWORD dst_unused:UNUSED_PRESERVE src0_sel:BYTE_2// 0000000101D4: 7E6C1CF9 00021637
	v_cvt_pk_fp8_f32 v56, v53, v54 op_sel:[0,0,1]              // 0000000101DC: D2A24038 00026D35
	v_cvt_off_f32_i4_sdwa v53, v55 dst_sel:DWORD dst_unused:UNUSED_PRESERVE src0_sel:BYTE_1// 0000000101E4: 7E6A1CF9 00011637
	v_cvt_off_f32_i4_sdwa v54, v55 dst_sel:DWORD dst_unused:UNUSED_PRESERVE src0_sel:BYTE_3// 0000000101EC: 7E6C1CF9 00031637
	v_cvt_pk_fp8_f32 v57, v53, v54 op_sel:[0,0,1]              // 0000000101F4: D2A24039 00026D35
	v_accvgpr_write_b32 a126, v56                              // 0000000101FC: D3D9407E 18000138
	v_accvgpr_write_b32 a127, v57                              // 000000010204: D3D9407F 18000139
	s_nop 3                                                    // 00000001020C: BF800003
	v_mfma_f32_16x16x32_fp8_fp8 v[216:219], a[126:127], v[158:159], v[216:219]// 000000010210: D3F300D8 0F633D7E
	v_mfma_f32_16x16x32_fp8_fp8 v[220:223], a[120:121], v[184:185], v[220:223]// 000000010218: D3F300DC 0F737178
	v_mfma_f32_16x16x32_fp8_fp8 v[220:223], a[122:123], v[186:187], v[220:223]// 000000010220: D3F300DC 0F73757A
	v_mfma_f32_16x16x32_fp8_fp8 v[220:223], a[124:125], v[188:189], v[220:223]// 000000010228: D3F300DC 0F73797C
	v_mfma_f32_16x16x32_fp8_fp8 v[220:223], a[126:127], v[190:191], v[220:223]// 000000010230: D3F300DC 0F737D7E
	s_add_u32 s60, 0x200, s80                                  // 000000010238: 803C50FF 00000200
	s_cmp_lt_u32 s60, s81                                      // 000000010240: BF0A513C
	s_cselect_b32 s56, s56, 0                                  // 000000010244: 85388038
	s_cselect_b32 s78, s78, 0                                  // 000000010248: 854E804E
	s_cselect_b32 s79, s79, 0                                  // 00000001024C: 854F804F
	s_add_u32 s12, s56, s12                                    // 000000010250: 800C0C38
	s_addc_u32 s13, 0, s13                                     // 000000010254: 820D0D80
	s_add_u32 s16, s79, s16                                    // 000000010258: 8010104F
	s_addc_u32 s17, 0, s17                                     // 00000001025C: 82111180
	v_mul_f32_e32 v192, v24, v192                              // 000000010260: 0B818118
	v_mul_f32_e32 v192, 0x41800000, v192                       // 000000010264: 0B8180FF 41800000
	v_mul_f32_e32 v193, v24, v193                              // 00000001026C: 0B838318
	v_mul_f32_e32 v193, 0x41800000, v193                       // 000000010270: 0B8382FF 41800000
	v_mul_f32_e32 v194, v24, v194                              // 000000010278: 0B858518
	v_mul_f32_e32 v194, 0x41800000, v194                       // 00000001027C: 0B8584FF 41800000
	v_mul_f32_e32 v195, v24, v195                              // 000000010284: 0B878718
	v_mul_f32_e32 v195, 0x41800000, v195                       // 000000010288: 0B8786FF 41800000
	v_mul_f32_dpp v192, v12, v192 row_newbcast:0 row_mask:0xf bank_mask:0xf// 000000010290: 0B8180FA FF01500C
	v_mul_f32_dpp v193, v12, v193 row_newbcast:1 row_mask:0xf bank_mask:0xf// 000000010298: 0B8382FA FF01510C
	v_mul_f32_dpp v194, v12, v194 row_newbcast:2 row_mask:0xf bank_mask:0xf// 0000000102A0: 0B8584FA FF01520C
	v_mul_f32_dpp v195, v12, v195 row_newbcast:3 row_mask:0xf bank_mask:0xf// 0000000102A8: 0B8786FA FF01530C
	v_mul_f32_e32 v192, v20, v192                              // 0000000102B0: 0B818114
	v_mul_f32_e32 v193, v20, v193                              // 0000000102B4: 0B838314
	v_mul_f32_e32 v194, v20, v194                              // 0000000102B8: 0B858514
	v_mul_f32_e32 v195, v20, v195                              // 0000000102BC: 0B878714
	v_mul_f32_e32 v196, v25, v196                              // 0000000102C0: 0B898919
	v_mul_f32_e32 v196, 0x41800000, v196                       // 0000000102C4: 0B8988FF 41800000
	v_mul_f32_e32 v197, v25, v197                              // 0000000102CC: 0B8B8B19
	v_mul_f32_e32 v197, 0x41800000, v197                       // 0000000102D0: 0B8B8AFF 41800000
	v_mul_f32_e32 v198, v25, v198                              // 0000000102D8: 0B8D8D19
	v_mul_f32_e32 v198, 0x41800000, v198                       // 0000000102DC: 0B8D8CFF 41800000
	v_mul_f32_e32 v199, v25, v199                              // 0000000102E4: 0B8F8F19
	v_mul_f32_e32 v199, 0x41800000, v199                       // 0000000102E8: 0B8F8EFF 41800000
	v_mul_f32_dpp v196, v12, v196 row_newbcast:0 row_mask:0xf bank_mask:0xf// 0000000102F0: 0B8988FA FF01500C
	v_mul_f32_dpp v197, v12, v197 row_newbcast:1 row_mask:0xf bank_mask:0xf// 0000000102F8: 0B8B8AFA FF01510C
	v_mul_f32_dpp v198, v12, v198 row_newbcast:2 row_mask:0xf bank_mask:0xf// 000000010300: 0B8D8CFA FF01520C
	v_mul_f32_dpp v199, v12, v199 row_newbcast:3 row_mask:0xf bank_mask:0xf// 000000010308: 0B8F8EFA FF01530C
	v_mul_f32_e32 v196, v21, v196                              // 000000010310: 0B898915
	v_mul_f32_e32 v197, v21, v197                              // 000000010314: 0B8B8B15
	v_mul_f32_e32 v198, v21, v198                              // 000000010318: 0B8D8D15
	v_mul_f32_e32 v199, v21, v199                              // 00000001031C: 0B8F8F15
	v_mul_f32_e32 v200, v24, v200                              // 000000010320: 0B919118
	v_mul_f32_e32 v200, 0x41800000, v200                       // 000000010324: 0B9190FF 41800000
	v_mul_f32_e32 v201, v24, v201                              // 00000001032C: 0B939318
	v_mul_f32_e32 v201, 0x41800000, v201                       // 000000010330: 0B9392FF 41800000
	v_mul_f32_e32 v202, v24, v202                              // 000000010338: 0B959518
	v_mul_f32_e32 v202, 0x41800000, v202                       // 00000001033C: 0B9594FF 41800000
	v_mul_f32_e32 v203, v24, v203                              // 000000010344: 0B979718
	v_mul_f32_e32 v203, 0x41800000, v203                       // 000000010348: 0B9796FF 41800000
	v_mul_f32_dpp v200, v12, v200 row_newbcast:4 row_mask:0xf bank_mask:0xf// 000000010350: 0B9190FA FF01540C
	v_mul_f32_dpp v201, v12, v201 row_newbcast:5 row_mask:0xf bank_mask:0xf// 000000010358: 0B9392FA FF01550C
	v_mul_f32_dpp v202, v12, v202 row_newbcast:6 row_mask:0xf bank_mask:0xf// 000000010360: 0B9594FA FF01560C
	v_mul_f32_dpp v203, v12, v203 row_newbcast:7 row_mask:0xf bank_mask:0xf// 000000010368: 0B9796FA FF01570C
	v_mul_f32_e32 v200, v20, v200                              // 000000010370: 0B919114
	v_mul_f32_e32 v201, v20, v201                              // 000000010374: 0B939314
	v_mul_f32_e32 v202, v20, v202                              // 000000010378: 0B959514
	v_mul_f32_e32 v203, v20, v203                              // 00000001037C: 0B979714
	v_mul_f32_e32 v204, v25, v204                              // 000000010380: 0B999919
	v_mul_f32_e32 v204, 0x41800000, v204                       // 000000010384: 0B9998FF 41800000
	v_mul_f32_e32 v205, v25, v205                              // 00000001038C: 0B9B9B19
	v_mul_f32_e32 v205, 0x41800000, v205                       // 000000010390: 0B9B9AFF 41800000
	v_mul_f32_e32 v206, v25, v206                              // 000000010398: 0B9D9D19
	v_mul_f32_e32 v206, 0x41800000, v206                       // 00000001039C: 0B9D9CFF 41800000
	v_mul_f32_e32 v207, v25, v207                              // 0000000103A4: 0B9F9F19
	v_mul_f32_e32 v207, 0x41800000, v207                       // 0000000103A8: 0B9F9EFF 41800000
	v_mul_f32_dpp v204, v12, v204 row_newbcast:4 row_mask:0xf bank_mask:0xf// 0000000103B0: 0B9998FA FF01540C
	v_mul_f32_dpp v205, v12, v205 row_newbcast:5 row_mask:0xf bank_mask:0xf// 0000000103B8: 0B9B9AFA FF01550C
	v_mul_f32_dpp v206, v12, v206 row_newbcast:6 row_mask:0xf bank_mask:0xf// 0000000103C0: 0B9D9CFA FF01560C
	v_mul_f32_dpp v207, v12, v207 row_newbcast:7 row_mask:0xf bank_mask:0xf// 0000000103C8: 0B9F9EFA FF01570C
	v_mul_f32_e32 v204, v21, v204                              // 0000000103D0: 0B999915
	v_mul_f32_e32 v205, v21, v205                              // 0000000103D4: 0B9B9B15
	v_mul_f32_e32 v206, v21, v206                              // 0000000103D8: 0B9D9D15
	v_mul_f32_e32 v207, v21, v207                              // 0000000103DC: 0B9F9F15
	v_mul_f32_e32 v208, v24, v208                              // 0000000103E0: 0BA1A118
	v_mul_f32_e32 v208, 0x41800000, v208                       // 0000000103E4: 0BA1A0FF 41800000
	v_mul_f32_e32 v209, v24, v209                              // 0000000103EC: 0BA3A318
	v_mul_f32_e32 v209, 0x41800000, v209                       // 0000000103F0: 0BA3A2FF 41800000
	v_mul_f32_e32 v210, v24, v210                              // 0000000103F8: 0BA5A518
	v_mul_f32_e32 v210, 0x41800000, v210                       // 0000000103FC: 0BA5A4FF 41800000
	v_mul_f32_e32 v211, v24, v211                              // 000000010404: 0BA7A718
	v_mul_f32_e32 v211, 0x41800000, v211                       // 000000010408: 0BA7A6FF 41800000
	v_mul_f32_dpp v208, v12, v208 row_newbcast:8 row_mask:0xf bank_mask:0xf// 000000010410: 0BA1A0FA FF01580C
	v_mul_f32_dpp v209, v12, v209 row_newbcast:9 row_mask:0xf bank_mask:0xf// 000000010418: 0BA3A2FA FF01590C
	v_mul_f32_dpp v210, v12, v210 row_newbcast:10 row_mask:0xf bank_mask:0xf// 000000010420: 0BA5A4FA FF015A0C
	v_mul_f32_dpp v211, v12, v211 row_newbcast:11 row_mask:0xf bank_mask:0xf// 000000010428: 0BA7A6FA FF015B0C
	v_mul_f32_e32 v208, v20, v208                              // 000000010430: 0BA1A114
	v_mul_f32_e32 v209, v20, v209                              // 000000010434: 0BA3A314
	v_mul_f32_e32 v210, v20, v210                              // 000000010438: 0BA5A514
	v_mul_f32_e32 v211, v20, v211                              // 00000001043C: 0BA7A714
	v_mul_f32_e32 v212, v25, v212                              // 000000010440: 0BA9A919
	v_mul_f32_e32 v212, 0x41800000, v212                       // 000000010444: 0BA9A8FF 41800000
	v_mul_f32_e32 v213, v25, v213                              // 00000001044C: 0BABAB19
	v_mul_f32_e32 v213, 0x41800000, v213                       // 000000010450: 0BABAAFF 41800000
	v_mul_f32_e32 v214, v25, v214                              // 000000010458: 0BADAD19
	v_mul_f32_e32 v214, 0x41800000, v214                       // 00000001045C: 0BADACFF 41800000
	v_mul_f32_e32 v215, v25, v215                              // 000000010464: 0BAFAF19
	v_mul_f32_e32 v215, 0x41800000, v215                       // 000000010468: 0BAFAEFF 41800000
	v_mul_f32_dpp v212, v12, v212 row_newbcast:8 row_mask:0xf bank_mask:0xf// 000000010470: 0BA9A8FA FF01580C
	v_mul_f32_dpp v213, v12, v213 row_newbcast:9 row_mask:0xf bank_mask:0xf// 000000010478: 0BABAAFA FF01590C
	v_mul_f32_dpp v214, v12, v214 row_newbcast:10 row_mask:0xf bank_mask:0xf// 000000010480: 0BADACFA FF015A0C
	v_mul_f32_dpp v215, v12, v215 row_newbcast:11 row_mask:0xf bank_mask:0xf// 000000010488: 0BAFAEFA FF015B0C
	v_mul_f32_e32 v212, v21, v212                              // 000000010490: 0BA9A915
	v_mul_f32_e32 v213, v21, v213                              // 000000010494: 0BABAB15
	v_mul_f32_e32 v214, v21, v214                              // 000000010498: 0BADAD15
	v_mul_f32_e32 v215, v21, v215                              // 00000001049C: 0BAFAF15
	v_mul_f32_e32 v216, v24, v216                              // 0000000104A0: 0BB1B118
	v_mul_f32_e32 v216, 0x41800000, v216                       // 0000000104A4: 0BB1B0FF 41800000
	v_mul_f32_e32 v217, v24, v217                              // 0000000104AC: 0BB3B318
	v_mul_f32_e32 v217, 0x41800000, v217                       // 0000000104B0: 0BB3B2FF 41800000
	v_mul_f32_e32 v218, v24, v218                              // 0000000104B8: 0BB5B518
	v_mul_f32_e32 v218, 0x41800000, v218                       // 0000000104BC: 0BB5B4FF 41800000
	v_mul_f32_e32 v219, v24, v219                              // 0000000104C4: 0BB7B718
	v_mul_f32_e32 v219, 0x41800000, v219                       // 0000000104C8: 0BB7B6FF 41800000
	v_mul_f32_dpp v216, v12, v216 row_newbcast:12 row_mask:0xf bank_mask:0xf// 0000000104D0: 0BB1B0FA FF015C0C
	v_mul_f32_dpp v217, v12, v217 row_newbcast:13 row_mask:0xf bank_mask:0xf// 0000000104D8: 0BB3B2FA FF015D0C
	v_mul_f32_dpp v218, v12, v218 row_newbcast:14 row_mask:0xf bank_mask:0xf// 0000000104E0: 0BB5B4FA FF015E0C
	v_mul_f32_dpp v219, v12, v219 row_newbcast:15 row_mask:0xf bank_mask:0xf// 0000000104E8: 0BB7B6FA FF015F0C
	v_mul_f32_e32 v216, v20, v216                              // 0000000104F0: 0BB1B114
	v_mul_f32_e32 v217, v20, v217                              // 0000000104F4: 0BB3B314
	v_mul_f32_e32 v218, v20, v218                              // 0000000104F8: 0BB5B514
	v_mul_f32_e32 v219, v20, v219                              // 0000000104FC: 0BB7B714
	v_mul_f32_e32 v220, v25, v220                              // 000000010500: 0BB9B919
	v_mul_f32_e32 v220, 0x41800000, v220                       // 000000010504: 0BB9B8FF 41800000
	v_mul_f32_e32 v221, v25, v221                              // 00000001050C: 0BBBBB19
	v_mul_f32_e32 v221, 0x41800000, v221                       // 000000010510: 0BBBBAFF 41800000
	v_mul_f32_e32 v222, v25, v222                              // 000000010518: 0BBDBD19
	v_mul_f32_e32 v222, 0x41800000, v222                       // 00000001051C: 0BBDBCFF 41800000
	v_mul_f32_e32 v223, v25, v223                              // 000000010524: 0BBFBF19
	v_mul_f32_e32 v223, 0x41800000, v223                       // 000000010528: 0BBFBEFF 41800000
	v_mul_f32_dpp v220, v12, v220 row_newbcast:12 row_mask:0xf bank_mask:0xf// 000000010530: 0BB9B8FA FF015C0C
	v_mul_f32_dpp v221, v12, v221 row_newbcast:13 row_mask:0xf bank_mask:0xf// 000000010538: 0BBBBAFA FF015D0C
	v_mul_f32_dpp v222, v12, v222 row_newbcast:14 row_mask:0xf bank_mask:0xf// 000000010540: 0BBDBCFA FF015E0C
	v_mul_f32_dpp v223, v12, v223 row_newbcast:15 row_mask:0xf bank_mask:0xf// 000000010548: 0BBFBEFA FF015F0C
	v_mul_f32_e32 v220, v21, v220                              // 000000010550: 0BB9B915
	v_mul_f32_e32 v221, v21, v221                              // 000000010554: 0BBBBB15
	v_mul_f32_e32 v222, v21, v222                              // 000000010558: 0BBDBD15
	v_mul_f32_e32 v223, v21, v223                              // 00000001055C: 0BBFBF15
	v_cmp_u_f32_e64 s[48:49], v192, v192                       // 000000010560: D0480030 000381C0
	v_add3_u32 v46, v192, v49, 1                               // 000000010568: D1FF002E 020663C0
	v_cndmask_b32_e64 v52, v46, v48, s[48:49]                  // 000000010570: D1000034 00C2612E
	v_cmp_u_f32_e64 s[48:49], v193, v193                       // 000000010578: D0480030 000383C1
	v_add3_u32 v46, v193, v49, 1                               // 000000010580: D1FF002E 020663C1
	v_cndmask_b32_e64 v53, v46, v48, s[48:49]                  // 000000010588: D1000035 00C2612E
	v_perm_b32 v192, v53, v52, s52                             // 000000010590: D1ED00C0 00D26935
	v_cmp_u_f32_e64 s[48:49], v194, v194                       // 000000010598: D0480030 000385C2
	v_add3_u32 v46, v194, v49, 1                               // 0000000105A0: D1FF002E 020663C2
	v_cndmask_b32_e64 v52, v46, v48, s[48:49]                  // 0000000105A8: D1000034 00C2612E
	v_cmp_u_f32_e64 s[48:49], v195, v195                       // 0000000105B0: D0480030 000387C3
	v_add3_u32 v46, v195, v49, 1                               // 0000000105B8: D1FF002E 020663C3
	v_cndmask_b32_e64 v53, v46, v48, s[48:49]                  // 0000000105C0: D1000035 00C2612E
	v_perm_b32 v193, v53, v52, s52                             // 0000000105C8: D1ED00C1 00D26935
	v_cmp_u_f32_e64 s[48:49], v196, v196                       // 0000000105D0: D0480030 000389C4
	v_add3_u32 v46, v196, v49, 1                               // 0000000105D8: D1FF002E 020663C4
	v_cndmask_b32_e64 v52, v46, v48, s[48:49]                  // 0000000105E0: D1000034 00C2612E
	v_cmp_u_f32_e64 s[48:49], v197, v197                       // 0000000105E8: D0480030 00038BC5
	v_add3_u32 v46, v197, v49, 1                               // 0000000105F0: D1FF002E 020663C5
	v_cndmask_b32_e64 v53, v46, v48, s[48:49]                  // 0000000105F8: D1000035 00C2612E
	v_perm_b32 v194, v53, v52, s52                             // 000000010600: D1ED00C2 00D26935
	v_cmp_u_f32_e64 s[48:49], v198, v198                       // 000000010608: D0480030 00038DC6
	v_add3_u32 v46, v198, v49, 1                               // 000000010610: D1FF002E 020663C6
	v_cndmask_b32_e64 v52, v46, v48, s[48:49]                  // 000000010618: D1000034 00C2612E
	v_cmp_u_f32_e64 s[48:49], v199, v199                       // 000000010620: D0480030 00038FC7
	v_add3_u32 v46, v199, v49, 1                               // 000000010628: D1FF002E 020663C7
	v_cndmask_b32_e64 v53, v46, v48, s[48:49]                  // 000000010630: D1000035 00C2612E
	v_perm_b32 v195, v53, v52, s52                             // 000000010638: D1ED00C3 00D26935
	v_cmp_u_f32_e64 s[48:49], v200, v200                       // 000000010640: D0480030 000391C8
	v_add3_u32 v46, v200, v49, 1                               // 000000010648: D1FF002E 020663C8
	v_cndmask_b32_e64 v52, v46, v48, s[48:49]                  // 000000010650: D1000034 00C2612E
	v_cmp_u_f32_e64 s[48:49], v201, v201                       // 000000010658: D0480030 000393C9
	v_add3_u32 v46, v201, v49, 1                               // 000000010660: D1FF002E 020663C9
	v_cndmask_b32_e64 v53, v46, v48, s[48:49]                  // 000000010668: D1000035 00C2612E
	v_perm_b32 v196, v53, v52, s52                             // 000000010670: D1ED00C4 00D26935
	v_cmp_u_f32_e64 s[48:49], v202, v202                       // 000000010678: D0480030 000395CA
	v_add3_u32 v46, v202, v49, 1                               // 000000010680: D1FF002E 020663CA
	v_cndmask_b32_e64 v52, v46, v48, s[48:49]                  // 000000010688: D1000034 00C2612E
	v_cmp_u_f32_e64 s[48:49], v203, v203                       // 000000010690: D0480030 000397CB
	v_add3_u32 v46, v203, v49, 1                               // 000000010698: D1FF002E 020663CB
	v_cndmask_b32_e64 v53, v46, v48, s[48:49]                  // 0000000106A0: D1000035 00C2612E
	v_perm_b32 v197, v53, v52, s52                             // 0000000106A8: D1ED00C5 00D26935
	v_cmp_u_f32_e64 s[48:49], v204, v204                       // 0000000106B0: D0480030 000399CC
	v_add3_u32 v46, v204, v49, 1                               // 0000000106B8: D1FF002E 020663CC
	v_cndmask_b32_e64 v52, v46, v48, s[48:49]                  // 0000000106C0: D1000034 00C2612E
	v_cmp_u_f32_e64 s[48:49], v205, v205                       // 0000000106C8: D0480030 00039BCD
	v_add3_u32 v46, v205, v49, 1                               // 0000000106D0: D1FF002E 020663CD
	v_cndmask_b32_e64 v53, v46, v48, s[48:49]                  // 0000000106D8: D1000035 00C2612E
	v_perm_b32 v198, v53, v52, s52                             // 0000000106E0: D1ED00C6 00D26935
	v_cmp_u_f32_e64 s[48:49], v206, v206                       // 0000000106E8: D0480030 00039DCE
	v_add3_u32 v46, v206, v49, 1                               // 0000000106F0: D1FF002E 020663CE
	v_cndmask_b32_e64 v52, v46, v48, s[48:49]                  // 0000000106F8: D1000034 00C2612E
	v_cmp_u_f32_e64 s[48:49], v207, v207                       // 000000010700: D0480030 00039FCF
	v_add3_u32 v46, v207, v49, 1                               // 000000010708: D1FF002E 020663CF
	v_cndmask_b32_e64 v53, v46, v48, s[48:49]                  // 000000010710: D1000035 00C2612E
	v_perm_b32 v199, v53, v52, s52                             // 000000010718: D1ED00C7 00D26935
	v_cmp_u_f32_e64 s[48:49], v208, v208                       // 000000010720: D0480030 0003A1D0
	v_add3_u32 v46, v208, v49, 1                               // 000000010728: D1FF002E 020663D0
	v_cndmask_b32_e64 v52, v46, v48, s[48:49]                  // 000000010730: D1000034 00C2612E
	v_cmp_u_f32_e64 s[48:49], v209, v209                       // 000000010738: D0480030 0003A3D1
	v_add3_u32 v46, v209, v49, 1                               // 000000010740: D1FF002E 020663D1
	v_cndmask_b32_e64 v53, v46, v48, s[48:49]                  // 000000010748: D1000035 00C2612E
	v_perm_b32 v200, v53, v52, s52                             // 000000010750: D1ED00C8 00D26935
	v_cmp_u_f32_e64 s[48:49], v210, v210                       // 000000010758: D0480030 0003A5D2
	v_add3_u32 v46, v210, v49, 1                               // 000000010760: D1FF002E 020663D2
	v_cndmask_b32_e64 v52, v46, v48, s[48:49]                  // 000000010768: D1000034 00C2612E
	v_cmp_u_f32_e64 s[48:49], v211, v211                       // 000000010770: D0480030 0003A7D3
	v_add3_u32 v46, v211, v49, 1                               // 000000010778: D1FF002E 020663D3
	v_cndmask_b32_e64 v53, v46, v48, s[48:49]                  // 000000010780: D1000035 00C2612E
	v_perm_b32 v201, v53, v52, s52                             // 000000010788: D1ED00C9 00D26935
	v_cmp_u_f32_e64 s[48:49], v212, v212                       // 000000010790: D0480030 0003A9D4
	v_add3_u32 v46, v212, v49, 1                               // 000000010798: D1FF002E 020663D4
	v_cndmask_b32_e64 v52, v46, v48, s[48:49]                  // 0000000107A0: D1000034 00C2612E
	v_cmp_u_f32_e64 s[48:49], v213, v213                       // 0000000107A8: D0480030 0003ABD5
	v_add3_u32 v46, v213, v49, 1                               // 0000000107B0: D1FF002E 020663D5
	v_cndmask_b32_e64 v53, v46, v48, s[48:49]                  // 0000000107B8: D1000035 00C2612E
	v_perm_b32 v202, v53, v52, s52                             // 0000000107C0: D1ED00CA 00D26935
	v_cmp_u_f32_e64 s[48:49], v214, v214                       // 0000000107C8: D0480030 0003ADD6
	v_add3_u32 v46, v214, v49, 1                               // 0000000107D0: D1FF002E 020663D6
	v_cndmask_b32_e64 v52, v46, v48, s[48:49]                  // 0000000107D8: D1000034 00C2612E
	v_cmp_u_f32_e64 s[48:49], v215, v215                       // 0000000107E0: D0480030 0003AFD7
	v_add3_u32 v46, v215, v49, 1                               // 0000000107E8: D1FF002E 020663D7
	v_cndmask_b32_e64 v53, v46, v48, s[48:49]                  // 0000000107F0: D1000035 00C2612E
	v_perm_b32 v203, v53, v52, s52                             // 0000000107F8: D1ED00CB 00D26935
	v_cmp_u_f32_e64 s[48:49], v216, v216                       // 000000010800: D0480030 0003B1D8
	v_add3_u32 v46, v216, v49, 1                               // 000000010808: D1FF002E 020663D8
	v_cndmask_b32_e64 v52, v46, v48, s[48:49]                  // 000000010810: D1000034 00C2612E
	v_cmp_u_f32_e64 s[48:49], v217, v217                       // 000000010818: D0480030 0003B3D9
	v_add3_u32 v46, v217, v49, 1                               // 000000010820: D1FF002E 020663D9
	v_cndmask_b32_e64 v53, v46, v48, s[48:49]                  // 000000010828: D1000035 00C2612E
	v_perm_b32 v204, v53, v52, s52                             // 000000010830: D1ED00CC 00D26935
	v_cmp_u_f32_e64 s[48:49], v218, v218                       // 000000010838: D0480030 0003B5DA
	v_add3_u32 v46, v218, v49, 1                               // 000000010840: D1FF002E 020663DA
	v_cndmask_b32_e64 v52, v46, v48, s[48:49]                  // 000000010848: D1000034 00C2612E
	v_cmp_u_f32_e64 s[48:49], v219, v219                       // 000000010850: D0480030 0003B7DB
	v_add3_u32 v46, v219, v49, 1                               // 000000010858: D1FF002E 020663DB
	v_cndmask_b32_e64 v53, v46, v48, s[48:49]                  // 000000010860: D1000035 00C2612E
	v_perm_b32 v205, v53, v52, s52                             // 000000010868: D1ED00CD 00D26935
	v_cmp_u_f32_e64 s[48:49], v220, v220                       // 000000010870: D0480030 0003B9DC
	v_add3_u32 v46, v220, v49, 1                               // 000000010878: D1FF002E 020663DC
	v_cndmask_b32_e64 v52, v46, v48, s[48:49]                  // 000000010880: D1000034 00C2612E
	v_cmp_u_f32_e64 s[48:49], v221, v221                       // 000000010888: D0480030 0003BBDD
	v_add3_u32 v46, v221, v49, 1                               // 000000010890: D1FF002E 020663DD
	v_cndmask_b32_e64 v53, v46, v48, s[48:49]                  // 000000010898: D1000035 00C2612E
	v_perm_b32 v206, v53, v52, s52                             // 0000000108A0: D1ED00CE 00D26935
	v_cmp_u_f32_e64 s[48:49], v222, v222                       // 0000000108A8: D0480030 0003BDDE
	v_add3_u32 v46, v222, v49, 1                               // 0000000108B0: D1FF002E 020663DE
	v_cndmask_b32_e64 v52, v46, v48, s[48:49]                  // 0000000108B8: D1000034 00C2612E
	v_cmp_u_f32_e64 s[48:49], v223, v223                       // 0000000108C0: D0480030 0003BFDF
	v_add3_u32 v46, v223, v49, 1                               // 0000000108C8: D1FF002E 020663DF
	v_cndmask_b32_e64 v53, v46, v48, s[48:49]                  // 0000000108D0: D1000035 00C2612E
	v_perm_b32 v207, v53, v52, s52                             // 0000000108D8: D1ED00CF 00D26935
	ds_write_b64 v3, v[192:193] offset:35072                   // 0000000108E0: D89A8900 0000C003
	ds_write_b64 v3, v[194:195] offset:43776                   // 0000000108E8: D89AAB00 0000C203
	ds_write_b64 v3, v[196:197] offset:37248                   // 0000000108F0: D89A9180 0000C403
	ds_write_b64 v3, v[198:199] offset:45952                   // 0000000108F8: D89AB380 0000C603
	ds_write_b64 v3, v[200:201] offset:39424                   // 000000010900: D89A9A00 0000C803
	ds_write_b64 v3, v[202:203] offset:48128                   // 000000010908: D89ABC00 0000CA03
	ds_write_b64 v3, v[204:205] offset:41600                   // 000000010910: D89AA280 0000CC03
	ds_write_b64 v3, v[206:207] offset:50304                   // 000000010918: D89AC480 0000CE03
	s_waitcnt lgkmcnt(0)                                       // 000000010920: BF8CC07F
	s_barrier                                                  // 000000010924: BF8A0000
	ds_read_b32 v64, v4 offset:35072                           // 000000010928: D86C8900 40000004
	ds_read_b32 v65, v4 offset:39424                           // 000000010930: D86C9A00 41000004
	ds_read_b32 v66, v4 offset:35104                           // 000000010938: D86C8920 42000004
	ds_read_b32 v67, v4 offset:39456                           // 000000010940: D86C9A20 43000004
	ds_read_b32 v68, v4 offset:35136                           // 000000010948: D86C8940 44000004
	ds_read_b32 v69, v4 offset:39488                           // 000000010950: D86C9A40 45000004
	ds_read_b32 v70, v4 offset:35168                           // 000000010958: D86C8960 46000004
	ds_read_b32 v71, v4 offset:39520                           // 000000010960: D86C9A60 47000004
	ds_read_b32 v72, v4 offset:43776                           // 000000010968: D86CAB00 48000004
	ds_read_b32 v73, v4 offset:48128                           // 000000010970: D86CBC00 49000004
	ds_read_b32 v74, v4 offset:43808                           // 000000010978: D86CAB20 4A000004
	ds_read_b32 v75, v4 offset:48160                           // 000000010980: D86CBC20 4B000004
	ds_read_b32 v76, v4 offset:43840                           // 000000010988: D86CAB40 4C000004
	ds_read_b32 v77, v4 offset:48192                           // 000000010990: D86CBC40 4D000004
	ds_read_b32 v78, v4 offset:43872                           // 000000010998: D86CAB60 4E000004
	ds_read_b32 v79, v4 offset:48224                           // 0000000109A0: D86CBC60 4F000004
	s_waitcnt lgkmcnt(0)                                       // 0000000109A8: BF8CC07F
	s_mov_b64 exec, s[20:21]                                   // 0000000109AC: BEFE0114
	global_atomic_pk_add_bf16 v80, v64, s[8:9]                 // 0000000109B0: DD488000 00084050
	s_mov_b64 exec, s[36:37]                                   // 0000000109B8: BEFE0124
	s_mov_b64 exec, s[20:21]                                   // 0000000109BC: BEFE0114
	global_atomic_pk_add_bf16 v80, v65, s[8:9] offset:256      // 0000000109C0: DD488100 00084150
	s_mov_b64 exec, s[36:37]                                   // 0000000109C8: BEFE0124
	s_mov_b64 exec, s[22:23]                                   // 0000000109CC: BEFE0116
	global_atomic_pk_add_bf16 v82, v66, s[8:9]                 // 0000000109D0: DD488000 00084252
	s_mov_b64 exec, s[36:37]                                   // 0000000109D8: BEFE0124
	s_mov_b64 exec, s[22:23]                                   // 0000000109DC: BEFE0116
	global_atomic_pk_add_bf16 v82, v67, s[8:9] offset:256      // 0000000109E0: DD488100 00084352
	s_mov_b64 exec, s[36:37]                                   // 0000000109E8: BEFE0124
	s_mov_b64 exec, s[24:25]                                   // 0000000109EC: BEFE0118
	global_atomic_pk_add_bf16 v84, v68, s[8:9]                 // 0000000109F0: DD488000 00084454
	s_mov_b64 exec, s[36:37]                                   // 0000000109F8: BEFE0124
	s_mov_b64 exec, s[24:25]                                   // 0000000109FC: BEFE0118
	global_atomic_pk_add_bf16 v84, v69, s[8:9] offset:256      // 000000010A00: DD488100 00084554
	s_mov_b64 exec, s[36:37]                                   // 000000010A08: BEFE0124
	s_mov_b64 exec, s[26:27]                                   // 000000010A0C: BEFE011A
	global_atomic_pk_add_bf16 v86, v70, s[8:9]                 // 000000010A10: DD488000 00084656
	s_mov_b64 exec, s[36:37]                                   // 000000010A18: BEFE0124
	s_mov_b64 exec, s[26:27]                                   // 000000010A1C: BEFE011A
	global_atomic_pk_add_bf16 v86, v71, s[8:9] offset:256      // 000000010A20: DD488100 00084756
	s_mov_b64 exec, s[36:37]                                   // 000000010A28: BEFE0124
	s_mov_b64 exec, s[28:29]                                   // 000000010A2C: BEFE011C
	global_atomic_pk_add_bf16 v88, v72, s[8:9]                 // 000000010A30: DD488000 00084858
	s_mov_b64 exec, s[36:37]                                   // 000000010A38: BEFE0124
	s_mov_b64 exec, s[28:29]                                   // 000000010A3C: BEFE011C
	global_atomic_pk_add_bf16 v88, v73, s[8:9] offset:256      // 000000010A40: DD488100 00084958
	s_mov_b64 exec, s[36:37]                                   // 000000010A48: BEFE0124
	s_mov_b64 exec, s[30:31]                                   // 000000010A4C: BEFE011E
	global_atomic_pk_add_bf16 v90, v74, s[8:9]                 // 000000010A50: DD488000 00084A5A
	s_mov_b64 exec, s[36:37]                                   // 000000010A58: BEFE0124
	s_mov_b64 exec, s[30:31]                                   // 000000010A5C: BEFE011E
	global_atomic_pk_add_bf16 v90, v75, s[8:9] offset:256      // 000000010A60: DD488100 00084B5A
	s_mov_b64 exec, s[36:37]                                   // 000000010A68: BEFE0124
	s_mov_b64 exec, s[32:33]                                   // 000000010A6C: BEFE0120
	global_atomic_pk_add_bf16 v92, v76, s[8:9]                 // 000000010A70: DD488000 00084C5C
	s_mov_b64 exec, s[36:37]                                   // 000000010A78: BEFE0124
	s_mov_b64 exec, s[32:33]                                   // 000000010A7C: BEFE0120
	global_atomic_pk_add_bf16 v92, v77, s[8:9] offset:256      // 000000010A80: DD488100 00084D5C
	s_mov_b64 exec, s[36:37]                                   // 000000010A88: BEFE0124
	s_mov_b64 exec, s[34:35]                                   // 000000010A8C: BEFE0122
	global_atomic_pk_add_bf16 v94, v78, s[8:9]                 // 000000010A90: DD488000 00084E5E
	s_mov_b64 exec, s[36:37]                                   // 000000010A98: BEFE0124
	s_mov_b64 exec, s[34:35]                                   // 000000010A9C: BEFE0122
	global_atomic_pk_add_bf16 v94, v79, s[8:9] offset:256      // 000000010AA0: DD488100 00084F5E
	s_mov_b64 exec, s[36:37]                                   // 000000010AA8: BEFE0124
	s_add_u32 s8, s59, s8                                      // 000000010AAC: 8008083B
	s_addc_u32 s9, 0, s9                                       // 000000010AB0: 82090980
	s_addk_i32 s80, 0x100                                      // 000000010AB4: B7500100
	s_cmp_lt_i32 s80, s81                                      // 000000010AB8: BF045150
	s_cbranch_scc0 label_42C0                                  // 000000010ABC: BF840AD0
	s_waitcnt vmcnt(29)                                        // 000000010AC0: BF8C4F7D
	s_barrier                                                  // 000000010AC4: BF8A0000
	v_accvgpr_read_b32 v52, a192                               // 000000010AC8: D3D84034 180001C0
	v_cvt_off_f32_i4_e32 v53, v52                              // 000000010AD0: 7E6A1D34
	v_cvt_off_f32_i4_sdwa v54, v52 dst_sel:DWORD dst_unused:UNUSED_PRESERVE src0_sel:BYTE_2// 000000010AD4: 7E6C1CF9 00021634
	v_cvt_pk_fp8_f32 v56, v53, v54                             // 000000010ADC: D2A20038 00026D35
	v_cvt_off_f32_i4_sdwa v53, v52 dst_sel:DWORD dst_unused:UNUSED_PRESERVE src0_sel:BYTE_1// 000000010AE4: 7E6A1CF9 00011634
	v_cvt_off_f32_i4_sdwa v54, v52 dst_sel:DWORD dst_unused:UNUSED_PRESERVE src0_sel:BYTE_3// 000000010AEC: 7E6C1CF9 00031634
	v_cvt_pk_fp8_f32 v57, v53, v54                             // 000000010AF4: D2A20039 00026D35
	v_lshrrev_b32_e32 v55, 4, v52                              // 000000010AFC: 206E6884
	v_cvt_off_f32_i4_e32 v53, v55                              // 000000010B00: 7E6A1D37
	v_cvt_off_f32_i4_sdwa v54, v55 dst_sel:DWORD dst_unused:UNUSED_PRESERVE src0_sel:BYTE_2// 000000010B04: 7E6C1CF9 00021637
	v_cvt_pk_fp8_f32 v56, v53, v54 op_sel:[0,0,1]              // 000000010B0C: D2A24038 00026D35
	v_cvt_off_f32_i4_sdwa v53, v55 dst_sel:DWORD dst_unused:UNUSED_PRESERVE src0_sel:BYTE_1// 000000010B14: 7E6A1CF9 00011637
	v_cvt_off_f32_i4_sdwa v54, v55 dst_sel:DWORD dst_unused:UNUSED_PRESERVE src0_sel:BYTE_3// 000000010B1C: 7E6C1CF9 00031637
	v_cvt_pk_fp8_f32 v57, v53, v54 op_sel:[0,0,1]              // 000000010B24: D2A24039 00026D35
	v_accvgpr_write_b32 a128, v56                              // 000000010B2C: D3D94080 18000138
	v_accvgpr_write_b32 a129, v57                              // 000000010B34: D3D94081 18000139
	s_nop 3                                                    // 000000010B3C: BF800003
	v_mfma_f32_16x16x32_fp8_fp8 v[224:227], a[128:129], v[128:129], 0// 000000010B40: D3F300E0 0A030180
	v_accvgpr_read_b32 v52, a193                               // 000000010B48: D3D84034 180001C1
	v_cvt_off_f32_i4_e32 v53, v52                              // 000000010B50: 7E6A1D34
	v_cvt_off_f32_i4_sdwa v54, v52 dst_sel:DWORD dst_unused:UNUSED_PRESERVE src0_sel:BYTE_2// 000000010B54: 7E6C1CF9 00021634
	v_cvt_pk_fp8_f32 v56, v53, v54                             // 000000010B5C: D2A20038 00026D35
	v_cvt_off_f32_i4_sdwa v53, v52 dst_sel:DWORD dst_unused:UNUSED_PRESERVE src0_sel:BYTE_1// 000000010B64: 7E6A1CF9 00011634
	v_cvt_off_f32_i4_sdwa v54, v52 dst_sel:DWORD dst_unused:UNUSED_PRESERVE src0_sel:BYTE_3// 000000010B6C: 7E6C1CF9 00031634
	v_cvt_pk_fp8_f32 v57, v53, v54                             // 000000010B74: D2A20039 00026D35
	v_lshrrev_b32_e32 v55, 4, v52                              // 000000010B7C: 206E6884
	v_cvt_off_f32_i4_e32 v53, v55                              // 000000010B80: 7E6A1D37
	v_cvt_off_f32_i4_sdwa v54, v55 dst_sel:DWORD dst_unused:UNUSED_PRESERVE src0_sel:BYTE_2// 000000010B84: 7E6C1CF9 00021637
	v_cvt_pk_fp8_f32 v56, v53, v54 op_sel:[0,0,1]              // 000000010B8C: D2A24038 00026D35
	v_cvt_off_f32_i4_sdwa v53, v55 dst_sel:DWORD dst_unused:UNUSED_PRESERVE src0_sel:BYTE_1// 000000010B94: 7E6A1CF9 00011637
	v_cvt_off_f32_i4_sdwa v54, v55 dst_sel:DWORD dst_unused:UNUSED_PRESERVE src0_sel:BYTE_3// 000000010B9C: 7E6C1CF9 00031637
	v_cvt_pk_fp8_f32 v57, v53, v54 op_sel:[0,0,1]              // 000000010BA4: D2A24039 00026D35
	v_accvgpr_write_b32 a130, v56                              // 000000010BAC: D3D94082 18000138
	v_accvgpr_write_b32 a131, v57                              // 000000010BB4: D3D94083 18000139
	s_nop 3                                                    // 000000010BBC: BF800003
	v_mfma_f32_16x16x32_fp8_fp8 v[224:227], a[130:131], v[130:131], v[224:227]// 000000010BC0: D3F300E0 0F830582
	buffer_load_dwordx4 a[64:67], v42, s[12:15], 0 offen       // 000000010BC8: E05C1000 8083402A
	v_accvgpr_read_b32 v52, a194                               // 000000010BD0: D3D84034 180001C2
	v_cvt_off_f32_i4_e32 v53, v52                              // 000000010BD8: 7E6A1D34
	v_cvt_off_f32_i4_sdwa v54, v52 dst_sel:DWORD dst_unused:UNUSED_PRESERVE src0_sel:BYTE_2// 000000010BDC: 7E6C1CF9 00021634
	v_cvt_pk_fp8_f32 v56, v53, v54                             // 000000010BE4: D2A20038 00026D35
	v_cvt_off_f32_i4_sdwa v53, v52 dst_sel:DWORD dst_unused:UNUSED_PRESERVE src0_sel:BYTE_1// 000000010BEC: 7E6A1CF9 00011634
	v_cvt_off_f32_i4_sdwa v54, v52 dst_sel:DWORD dst_unused:UNUSED_PRESERVE src0_sel:BYTE_3// 000000010BF4: 7E6C1CF9 00031634
	v_cvt_pk_fp8_f32 v57, v53, v54                             // 000000010BFC: D2A20039 00026D35
	v_lshrrev_b32_e32 v55, 4, v52                              // 000000010C04: 206E6884
	v_cvt_off_f32_i4_e32 v53, v55                              // 000000010C08: 7E6A1D37
	v_cvt_off_f32_i4_sdwa v54, v55 dst_sel:DWORD dst_unused:UNUSED_PRESERVE src0_sel:BYTE_2// 000000010C0C: 7E6C1CF9 00021637
	v_cvt_pk_fp8_f32 v56, v53, v54 op_sel:[0,0,1]              // 000000010C14: D2A24038 00026D35
	v_cvt_off_f32_i4_sdwa v53, v55 dst_sel:DWORD dst_unused:UNUSED_PRESERVE src0_sel:BYTE_1// 000000010C1C: 7E6A1CF9 00011637
	v_cvt_off_f32_i4_sdwa v54, v55 dst_sel:DWORD dst_unused:UNUSED_PRESERVE src0_sel:BYTE_3// 000000010C24: 7E6C1CF9 00031637
	v_cvt_pk_fp8_f32 v57, v53, v54 op_sel:[0,0,1]              // 000000010C2C: D2A24039 00026D35
	v_accvgpr_write_b32 a132, v56                              // 000000010C34: D3D94084 18000138
	v_accvgpr_write_b32 a133, v57                              // 000000010C3C: D3D94085 18000139
	s_nop 3                                                    // 000000010C44: BF800003
	v_mfma_f32_16x16x32_fp8_fp8 v[224:227], a[132:133], v[132:133], v[224:227]// 000000010C48: D3F300E0 0F830984
	v_accvgpr_read_b32 v52, a195                               // 000000010C50: D3D84034 180001C3
	v_cvt_off_f32_i4_e32 v53, v52                              // 000000010C58: 7E6A1D34
	v_cvt_off_f32_i4_sdwa v54, v52 dst_sel:DWORD dst_unused:UNUSED_PRESERVE src0_sel:BYTE_2// 000000010C5C: 7E6C1CF9 00021634
	v_cvt_pk_fp8_f32 v56, v53, v54                             // 000000010C64: D2A20038 00026D35
	v_cvt_off_f32_i4_sdwa v53, v52 dst_sel:DWORD dst_unused:UNUSED_PRESERVE src0_sel:BYTE_1// 000000010C6C: 7E6A1CF9 00011634
	v_cvt_off_f32_i4_sdwa v54, v52 dst_sel:DWORD dst_unused:UNUSED_PRESERVE src0_sel:BYTE_3// 000000010C74: 7E6C1CF9 00031634
	v_cvt_pk_fp8_f32 v57, v53, v54                             // 000000010C7C: D2A20039 00026D35
	v_lshrrev_b32_e32 v55, 4, v52                              // 000000010C84: 206E6884
	v_cvt_off_f32_i4_e32 v53, v55                              // 000000010C88: 7E6A1D37
	v_cvt_off_f32_i4_sdwa v54, v55 dst_sel:DWORD dst_unused:UNUSED_PRESERVE src0_sel:BYTE_2// 000000010C8C: 7E6C1CF9 00021637
	v_cvt_pk_fp8_f32 v56, v53, v54 op_sel:[0,0,1]              // 000000010C94: D2A24038 00026D35
	v_cvt_off_f32_i4_sdwa v53, v55 dst_sel:DWORD dst_unused:UNUSED_PRESERVE src0_sel:BYTE_1// 000000010C9C: 7E6A1CF9 00011637
	v_cvt_off_f32_i4_sdwa v54, v55 dst_sel:DWORD dst_unused:UNUSED_PRESERVE src0_sel:BYTE_3// 000000010CA4: 7E6C1CF9 00031637
	v_cvt_pk_fp8_f32 v57, v53, v54 op_sel:[0,0,1]              // 000000010CAC: D2A24039 00026D35
	v_accvgpr_write_b32 a134, v56                              // 000000010CB4: D3D94086 18000138
	v_accvgpr_write_b32 a135, v57                              // 000000010CBC: D3D94087 18000139
	s_nop 3                                                    // 000000010CC4: BF800003
	v_mfma_f32_16x16x32_fp8_fp8 v[224:227], a[134:135], v[134:135], v[224:227]// 000000010CC8: D3F300E0 0F830D86
	v_mfma_f32_16x16x32_fp8_fp8 v[228:231], a[128:129], v[160:161], 0// 000000010CD0: D3F300E4 0A034180
	v_mfma_f32_16x16x32_fp8_fp8 v[228:231], a[130:131], v[162:163], v[228:231]// 000000010CD8: D3F300E4 0F934582
	v_mfma_f32_16x16x32_fp8_fp8 v[228:231], a[132:133], v[164:165], v[228:231]// 000000010CE0: D3F300E4 0F934984
	v_mfma_f32_16x16x32_fp8_fp8 v[228:231], a[134:135], v[166:167], v[228:231]// 000000010CE8: D3F300E4 0F934D86
	v_accvgpr_read_b32 v52, a196                               // 000000010CF0: D3D84034 180001C4
	v_cvt_off_f32_i4_e32 v53, v52                              // 000000010CF8: 7E6A1D34
	v_cvt_off_f32_i4_sdwa v54, v52 dst_sel:DWORD dst_unused:UNUSED_PRESERVE src0_sel:BYTE_2// 000000010CFC: 7E6C1CF9 00021634
	v_cvt_pk_fp8_f32 v56, v53, v54                             // 000000010D04: D2A20038 00026D35
	v_cvt_off_f32_i4_sdwa v53, v52 dst_sel:DWORD dst_unused:UNUSED_PRESERVE src0_sel:BYTE_1// 000000010D0C: 7E6A1CF9 00011634
	v_cvt_off_f32_i4_sdwa v54, v52 dst_sel:DWORD dst_unused:UNUSED_PRESERVE src0_sel:BYTE_3// 000000010D14: 7E6C1CF9 00031634
	v_cvt_pk_fp8_f32 v57, v53, v54                             // 000000010D1C: D2A20039 00026D35
	v_lshrrev_b32_e32 v55, 4, v52                              // 000000010D24: 206E6884
	v_cvt_off_f32_i4_e32 v53, v55                              // 000000010D28: 7E6A1D37
	v_cvt_off_f32_i4_sdwa v54, v55 dst_sel:DWORD dst_unused:UNUSED_PRESERVE src0_sel:BYTE_2// 000000010D2C: 7E6C1CF9 00021637
	v_cvt_pk_fp8_f32 v56, v53, v54 op_sel:[0,0,1]              // 000000010D34: D2A24038 00026D35
	v_cvt_off_f32_i4_sdwa v53, v55 dst_sel:DWORD dst_unused:UNUSED_PRESERVE src0_sel:BYTE_1// 000000010D3C: 7E6A1CF9 00011637
	v_cvt_off_f32_i4_sdwa v54, v55 dst_sel:DWORD dst_unused:UNUSED_PRESERVE src0_sel:BYTE_3// 000000010D44: 7E6C1CF9 00031637
	v_cvt_pk_fp8_f32 v57, v53, v54 op_sel:[0,0,1]              // 000000010D4C: D2A24039 00026D35
	v_accvgpr_write_b32 a136, v56                              // 000000010D54: D3D94088 18000138
	v_accvgpr_write_b32 a137, v57                              // 000000010D5C: D3D94089 18000139
	s_nop 3                                                    // 000000010D64: BF800003
	v_mfma_f32_16x16x32_fp8_fp8 v[232:235], a[136:137], v[128:129], 0// 000000010D68: D3F300E8 0A030188
	v_accvgpr_read_b32 v52, a197                               // 000000010D70: D3D84034 180001C5
	v_cvt_off_f32_i4_e32 v53, v52                              // 000000010D78: 7E6A1D34
	v_cvt_off_f32_i4_sdwa v54, v52 dst_sel:DWORD dst_unused:UNUSED_PRESERVE src0_sel:BYTE_2// 000000010D7C: 7E6C1CF9 00021634
	v_cvt_pk_fp8_f32 v56, v53, v54                             // 000000010D84: D2A20038 00026D35
	v_cvt_off_f32_i4_sdwa v53, v52 dst_sel:DWORD dst_unused:UNUSED_PRESERVE src0_sel:BYTE_1// 000000010D8C: 7E6A1CF9 00011634
	v_cvt_off_f32_i4_sdwa v54, v52 dst_sel:DWORD dst_unused:UNUSED_PRESERVE src0_sel:BYTE_3// 000000010D94: 7E6C1CF9 00031634
	v_cvt_pk_fp8_f32 v57, v53, v54                             // 000000010D9C: D2A20039 00026D35
	v_lshrrev_b32_e32 v55, 4, v52                              // 000000010DA4: 206E6884
	v_cvt_off_f32_i4_e32 v53, v55                              // 000000010DA8: 7E6A1D37
	v_cvt_off_f32_i4_sdwa v54, v55 dst_sel:DWORD dst_unused:UNUSED_PRESERVE src0_sel:BYTE_2// 000000010DAC: 7E6C1CF9 00021637
	v_cvt_pk_fp8_f32 v56, v53, v54 op_sel:[0,0,1]              // 000000010DB4: D2A24038 00026D35
	v_cvt_off_f32_i4_sdwa v53, v55 dst_sel:DWORD dst_unused:UNUSED_PRESERVE src0_sel:BYTE_1// 000000010DBC: 7E6A1CF9 00011637
	v_cvt_off_f32_i4_sdwa v54, v55 dst_sel:DWORD dst_unused:UNUSED_PRESERVE src0_sel:BYTE_3// 000000010DC4: 7E6C1CF9 00031637
	v_cvt_pk_fp8_f32 v57, v53, v54 op_sel:[0,0,1]              // 000000010DCC: D2A24039 00026D35
	v_accvgpr_write_b32 a138, v56                              // 000000010DD4: D3D9408A 18000138
	v_accvgpr_write_b32 a139, v57                              // 000000010DDC: D3D9408B 18000139
	s_nop 3                                                    // 000000010DE4: BF800003
	v_mfma_f32_16x16x32_fp8_fp8 v[232:235], a[138:139], v[130:131], v[232:235]// 000000010DE8: D3F300E8 0FA3058A
	buffer_load_dwordx4 a[68:71], v43, s[12:15], 0 offen       // 000000010DF0: E05C1000 8083442B
	v_accvgpr_read_b32 v52, a198                               // 000000010DF8: D3D84034 180001C6
	v_cvt_off_f32_i4_e32 v53, v52                              // 000000010E00: 7E6A1D34
	v_cvt_off_f32_i4_sdwa v54, v52 dst_sel:DWORD dst_unused:UNUSED_PRESERVE src0_sel:BYTE_2// 000000010E04: 7E6C1CF9 00021634
	v_cvt_pk_fp8_f32 v56, v53, v54                             // 000000010E0C: D2A20038 00026D35
	v_cvt_off_f32_i4_sdwa v53, v52 dst_sel:DWORD dst_unused:UNUSED_PRESERVE src0_sel:BYTE_1// 000000010E14: 7E6A1CF9 00011634
	v_cvt_off_f32_i4_sdwa v54, v52 dst_sel:DWORD dst_unused:UNUSED_PRESERVE src0_sel:BYTE_3// 000000010E1C: 7E6C1CF9 00031634
	v_cvt_pk_fp8_f32 v57, v53, v54                             // 000000010E24: D2A20039 00026D35
	v_lshrrev_b32_e32 v55, 4, v52                              // 000000010E2C: 206E6884
	v_cvt_off_f32_i4_e32 v53, v55                              // 000000010E30: 7E6A1D37
	v_cvt_off_f32_i4_sdwa v54, v55 dst_sel:DWORD dst_unused:UNUSED_PRESERVE src0_sel:BYTE_2// 000000010E34: 7E6C1CF9 00021637
	v_cvt_pk_fp8_f32 v56, v53, v54 op_sel:[0,0,1]              // 000000010E3C: D2A24038 00026D35
	v_cvt_off_f32_i4_sdwa v53, v55 dst_sel:DWORD dst_unused:UNUSED_PRESERVE src0_sel:BYTE_1// 000000010E44: 7E6A1CF9 00011637
	v_cvt_off_f32_i4_sdwa v54, v55 dst_sel:DWORD dst_unused:UNUSED_PRESERVE src0_sel:BYTE_3// 000000010E4C: 7E6C1CF9 00031637
	v_cvt_pk_fp8_f32 v57, v53, v54 op_sel:[0,0,1]              // 000000010E54: D2A24039 00026D35
	v_accvgpr_write_b32 a140, v56                              // 000000010E5C: D3D9408C 18000138
	v_accvgpr_write_b32 a141, v57                              // 000000010E64: D3D9408D 18000139
	s_nop 3                                                    // 000000010E6C: BF800003
	v_mfma_f32_16x16x32_fp8_fp8 v[232:235], a[140:141], v[132:133], v[232:235]// 000000010E70: D3F300E8 0FA3098C
	v_accvgpr_read_b32 v52, a199                               // 000000010E78: D3D84034 180001C7
	v_cvt_off_f32_i4_e32 v53, v52                              // 000000010E80: 7E6A1D34
	v_cvt_off_f32_i4_sdwa v54, v52 dst_sel:DWORD dst_unused:UNUSED_PRESERVE src0_sel:BYTE_2// 000000010E84: 7E6C1CF9 00021634
	v_cvt_pk_fp8_f32 v56, v53, v54                             // 000000010E8C: D2A20038 00026D35
	v_cvt_off_f32_i4_sdwa v53, v52 dst_sel:DWORD dst_unused:UNUSED_PRESERVE src0_sel:BYTE_1// 000000010E94: 7E6A1CF9 00011634
	v_cvt_off_f32_i4_sdwa v54, v52 dst_sel:DWORD dst_unused:UNUSED_PRESERVE src0_sel:BYTE_3// 000000010E9C: 7E6C1CF9 00031634
	v_cvt_pk_fp8_f32 v57, v53, v54                             // 000000010EA4: D2A20039 00026D35
	v_lshrrev_b32_e32 v55, 4, v52                              // 000000010EAC: 206E6884
	v_cvt_off_f32_i4_e32 v53, v55                              // 000000010EB0: 7E6A1D37
	v_cvt_off_f32_i4_sdwa v54, v55 dst_sel:DWORD dst_unused:UNUSED_PRESERVE src0_sel:BYTE_2// 000000010EB4: 7E6C1CF9 00021637
	v_cvt_pk_fp8_f32 v56, v53, v54 op_sel:[0,0,1]              // 000000010EBC: D2A24038 00026D35
	v_cvt_off_f32_i4_sdwa v53, v55 dst_sel:DWORD dst_unused:UNUSED_PRESERVE src0_sel:BYTE_1// 000000010EC4: 7E6A1CF9 00011637
	v_cvt_off_f32_i4_sdwa v54, v55 dst_sel:DWORD dst_unused:UNUSED_PRESERVE src0_sel:BYTE_3// 000000010ECC: 7E6C1CF9 00031637
	v_cvt_pk_fp8_f32 v57, v53, v54 op_sel:[0,0,1]              // 000000010ED4: D2A24039 00026D35
	v_accvgpr_write_b32 a142, v56                              // 000000010EDC: D3D9408E 18000138
	v_accvgpr_write_b32 a143, v57                              // 000000010EE4: D3D9408F 18000139
	s_nop 3                                                    // 000000010EEC: BF800003
	v_mfma_f32_16x16x32_fp8_fp8 v[232:235], a[142:143], v[134:135], v[232:235]// 000000010EF0: D3F300E8 0FA30D8E
	v_mfma_f32_16x16x32_fp8_fp8 v[236:239], a[136:137], v[160:161], 0// 000000010EF8: D3F300EC 0A034188
	v_mfma_f32_16x16x32_fp8_fp8 v[236:239], a[138:139], v[162:163], v[236:239]// 000000010F00: D3F300EC 0FB3458A
	v_mfma_f32_16x16x32_fp8_fp8 v[236:239], a[140:141], v[164:165], v[236:239]// 000000010F08: D3F300EC 0FB3498C
	v_mfma_f32_16x16x32_fp8_fp8 v[236:239], a[142:143], v[166:167], v[236:239]// 000000010F10: D3F300EC 0FB34D8E
	v_accvgpr_read_b32 v52, a200                               // 000000010F18: D3D84034 180001C8
	v_cvt_off_f32_i4_e32 v53, v52                              // 000000010F20: 7E6A1D34
	v_cvt_off_f32_i4_sdwa v54, v52 dst_sel:DWORD dst_unused:UNUSED_PRESERVE src0_sel:BYTE_2// 000000010F24: 7E6C1CF9 00021634
	v_cvt_pk_fp8_f32 v56, v53, v54                             // 000000010F2C: D2A20038 00026D35
	v_cvt_off_f32_i4_sdwa v53, v52 dst_sel:DWORD dst_unused:UNUSED_PRESERVE src0_sel:BYTE_1// 000000010F34: 7E6A1CF9 00011634
	v_cvt_off_f32_i4_sdwa v54, v52 dst_sel:DWORD dst_unused:UNUSED_PRESERVE src0_sel:BYTE_3// 000000010F3C: 7E6C1CF9 00031634
	v_cvt_pk_fp8_f32 v57, v53, v54                             // 000000010F44: D2A20039 00026D35
	v_lshrrev_b32_e32 v55, 4, v52                              // 000000010F4C: 206E6884
	v_cvt_off_f32_i4_e32 v53, v55                              // 000000010F50: 7E6A1D37
	v_cvt_off_f32_i4_sdwa v54, v55 dst_sel:DWORD dst_unused:UNUSED_PRESERVE src0_sel:BYTE_2// 000000010F54: 7E6C1CF9 00021637
	v_cvt_pk_fp8_f32 v56, v53, v54 op_sel:[0,0,1]              // 000000010F5C: D2A24038 00026D35
	v_cvt_off_f32_i4_sdwa v53, v55 dst_sel:DWORD dst_unused:UNUSED_PRESERVE src0_sel:BYTE_1// 000000010F64: 7E6A1CF9 00011637
	v_cvt_off_f32_i4_sdwa v54, v55 dst_sel:DWORD dst_unused:UNUSED_PRESERVE src0_sel:BYTE_3// 000000010F6C: 7E6C1CF9 00031637
	v_cvt_pk_fp8_f32 v57, v53, v54 op_sel:[0,0,1]              // 000000010F74: D2A24039 00026D35
	v_accvgpr_write_b32 a144, v56                              // 000000010F7C: D3D94090 18000138
	v_accvgpr_write_b32 a145, v57                              // 000000010F84: D3D94091 18000139
	s_nop 3                                                    // 000000010F8C: BF800003
	v_mfma_f32_16x16x32_fp8_fp8 v[240:243], a[144:145], v[128:129], 0// 000000010F90: D3F300F0 0A030190
	v_accvgpr_read_b32 v52, a201                               // 000000010F98: D3D84034 180001C9
	v_cvt_off_f32_i4_e32 v53, v52                              // 000000010FA0: 7E6A1D34
	v_cvt_off_f32_i4_sdwa v54, v52 dst_sel:DWORD dst_unused:UNUSED_PRESERVE src0_sel:BYTE_2// 000000010FA4: 7E6C1CF9 00021634
	v_cvt_pk_fp8_f32 v56, v53, v54                             // 000000010FAC: D2A20038 00026D35
	v_cvt_off_f32_i4_sdwa v53, v52 dst_sel:DWORD dst_unused:UNUSED_PRESERVE src0_sel:BYTE_1// 000000010FB4: 7E6A1CF9 00011634
	v_cvt_off_f32_i4_sdwa v54, v52 dst_sel:DWORD dst_unused:UNUSED_PRESERVE src0_sel:BYTE_3// 000000010FBC: 7E6C1CF9 00031634
	v_cvt_pk_fp8_f32 v57, v53, v54                             // 000000010FC4: D2A20039 00026D35
	v_lshrrev_b32_e32 v55, 4, v52                              // 000000010FCC: 206E6884
	v_cvt_off_f32_i4_e32 v53, v55                              // 000000010FD0: 7E6A1D37
	v_cvt_off_f32_i4_sdwa v54, v55 dst_sel:DWORD dst_unused:UNUSED_PRESERVE src0_sel:BYTE_2// 000000010FD4: 7E6C1CF9 00021637
	v_cvt_pk_fp8_f32 v56, v53, v54 op_sel:[0,0,1]              // 000000010FDC: D2A24038 00026D35
	v_cvt_off_f32_i4_sdwa v53, v55 dst_sel:DWORD dst_unused:UNUSED_PRESERVE src0_sel:BYTE_1// 000000010FE4: 7E6A1CF9 00011637
	v_cvt_off_f32_i4_sdwa v54, v55 dst_sel:DWORD dst_unused:UNUSED_PRESERVE src0_sel:BYTE_3// 000000010FEC: 7E6C1CF9 00031637
	v_cvt_pk_fp8_f32 v57, v53, v54 op_sel:[0,0,1]              // 000000010FF4: D2A24039 00026D35
	v_accvgpr_write_b32 a146, v56                              // 000000010FFC: D3D94092 18000138
	v_accvgpr_write_b32 a147, v57                              // 000000011004: D3D94093 18000139
	s_nop 3                                                    // 00000001100C: BF800003
	v_mfma_f32_16x16x32_fp8_fp8 v[240:243], a[146:147], v[130:131], v[240:243]// 000000011010: D3F300F0 0FC30592
	buffer_load_dwordx4 a[72:75], v44, s[12:15], 0 offen       // 000000011018: E05C1000 8083482C
	v_accvgpr_read_b32 v52, a202                               // 000000011020: D3D84034 180001CA
	v_cvt_off_f32_i4_e32 v53, v52                              // 000000011028: 7E6A1D34
	v_cvt_off_f32_i4_sdwa v54, v52 dst_sel:DWORD dst_unused:UNUSED_PRESERVE src0_sel:BYTE_2// 00000001102C: 7E6C1CF9 00021634
	v_cvt_pk_fp8_f32 v56, v53, v54                             // 000000011034: D2A20038 00026D35
	v_cvt_off_f32_i4_sdwa v53, v52 dst_sel:DWORD dst_unused:UNUSED_PRESERVE src0_sel:BYTE_1// 00000001103C: 7E6A1CF9 00011634
	v_cvt_off_f32_i4_sdwa v54, v52 dst_sel:DWORD dst_unused:UNUSED_PRESERVE src0_sel:BYTE_3// 000000011044: 7E6C1CF9 00031634
	v_cvt_pk_fp8_f32 v57, v53, v54                             // 00000001104C: D2A20039 00026D35
	v_lshrrev_b32_e32 v55, 4, v52                              // 000000011054: 206E6884
	v_cvt_off_f32_i4_e32 v53, v55                              // 000000011058: 7E6A1D37
	v_cvt_off_f32_i4_sdwa v54, v55 dst_sel:DWORD dst_unused:UNUSED_PRESERVE src0_sel:BYTE_2// 00000001105C: 7E6C1CF9 00021637
	v_cvt_pk_fp8_f32 v56, v53, v54 op_sel:[0,0,1]              // 000000011064: D2A24038 00026D35
	v_cvt_off_f32_i4_sdwa v53, v55 dst_sel:DWORD dst_unused:UNUSED_PRESERVE src0_sel:BYTE_1// 00000001106C: 7E6A1CF9 00011637
	v_cvt_off_f32_i4_sdwa v54, v55 dst_sel:DWORD dst_unused:UNUSED_PRESERVE src0_sel:BYTE_3// 000000011074: 7E6C1CF9 00031637
	v_cvt_pk_fp8_f32 v57, v53, v54 op_sel:[0,0,1]              // 00000001107C: D2A24039 00026D35
	v_accvgpr_write_b32 a148, v56                              // 000000011084: D3D94094 18000138
	v_accvgpr_write_b32 a149, v57                              // 00000001108C: D3D94095 18000139
	s_nop 3                                                    // 000000011094: BF800003
	v_mfma_f32_16x16x32_fp8_fp8 v[240:243], a[148:149], v[132:133], v[240:243]// 000000011098: D3F300F0 0FC30994
	v_accvgpr_read_b32 v52, a203                               // 0000000110A0: D3D84034 180001CB
	v_cvt_off_f32_i4_e32 v53, v52                              // 0000000110A8: 7E6A1D34
	v_cvt_off_f32_i4_sdwa v54, v52 dst_sel:DWORD dst_unused:UNUSED_PRESERVE src0_sel:BYTE_2// 0000000110AC: 7E6C1CF9 00021634
	v_cvt_pk_fp8_f32 v56, v53, v54                             // 0000000110B4: D2A20038 00026D35
	v_cvt_off_f32_i4_sdwa v53, v52 dst_sel:DWORD dst_unused:UNUSED_PRESERVE src0_sel:BYTE_1// 0000000110BC: 7E6A1CF9 00011634
	v_cvt_off_f32_i4_sdwa v54, v52 dst_sel:DWORD dst_unused:UNUSED_PRESERVE src0_sel:BYTE_3// 0000000110C4: 7E6C1CF9 00031634
	v_cvt_pk_fp8_f32 v57, v53, v54                             // 0000000110CC: D2A20039 00026D35
	v_lshrrev_b32_e32 v55, 4, v52                              // 0000000110D4: 206E6884
	v_cvt_off_f32_i4_e32 v53, v55                              // 0000000110D8: 7E6A1D37
	v_cvt_off_f32_i4_sdwa v54, v55 dst_sel:DWORD dst_unused:UNUSED_PRESERVE src0_sel:BYTE_2// 0000000110DC: 7E6C1CF9 00021637
	v_cvt_pk_fp8_f32 v56, v53, v54 op_sel:[0,0,1]              // 0000000110E4: D2A24038 00026D35
	v_cvt_off_f32_i4_sdwa v53, v55 dst_sel:DWORD dst_unused:UNUSED_PRESERVE src0_sel:BYTE_1// 0000000110EC: 7E6A1CF9 00011637
	v_cvt_off_f32_i4_sdwa v54, v55 dst_sel:DWORD dst_unused:UNUSED_PRESERVE src0_sel:BYTE_3// 0000000110F4: 7E6C1CF9 00031637
	v_cvt_pk_fp8_f32 v57, v53, v54 op_sel:[0,0,1]              // 0000000110FC: D2A24039 00026D35
	v_accvgpr_write_b32 a150, v56                              // 000000011104: D3D94096 18000138
	v_accvgpr_write_b32 a151, v57                              // 00000001110C: D3D94097 18000139
	s_nop 3                                                    // 000000011114: BF800003
	v_mfma_f32_16x16x32_fp8_fp8 v[240:243], a[150:151], v[134:135], v[240:243]// 000000011118: D3F300F0 0FC30D96
	v_mfma_f32_16x16x32_fp8_fp8 v[244:247], a[144:145], v[160:161], 0// 000000011120: D3F300F4 0A034190
	v_mfma_f32_16x16x32_fp8_fp8 v[244:247], a[146:147], v[162:163], v[244:247]// 000000011128: D3F300F4 0FD34592
	v_mfma_f32_16x16x32_fp8_fp8 v[244:247], a[148:149], v[164:165], v[244:247]// 000000011130: D3F300F4 0FD34994
	v_mfma_f32_16x16x32_fp8_fp8 v[244:247], a[150:151], v[166:167], v[244:247]// 000000011138: D3F300F4 0FD34D96
	v_accvgpr_read_b32 v52, a204                               // 000000011140: D3D84034 180001CC
	v_cvt_off_f32_i4_e32 v53, v52                              // 000000011148: 7E6A1D34
	v_cvt_off_f32_i4_sdwa v54, v52 dst_sel:DWORD dst_unused:UNUSED_PRESERVE src0_sel:BYTE_2// 00000001114C: 7E6C1CF9 00021634
	v_cvt_pk_fp8_f32 v56, v53, v54                             // 000000011154: D2A20038 00026D35
	v_cvt_off_f32_i4_sdwa v53, v52 dst_sel:DWORD dst_unused:UNUSED_PRESERVE src0_sel:BYTE_1// 00000001115C: 7E6A1CF9 00011634
	v_cvt_off_f32_i4_sdwa v54, v52 dst_sel:DWORD dst_unused:UNUSED_PRESERVE src0_sel:BYTE_3// 000000011164: 7E6C1CF9 00031634
	v_cvt_pk_fp8_f32 v57, v53, v54                             // 00000001116C: D2A20039 00026D35
	v_lshrrev_b32_e32 v55, 4, v52                              // 000000011174: 206E6884
	v_cvt_off_f32_i4_e32 v53, v55                              // 000000011178: 7E6A1D37
	v_cvt_off_f32_i4_sdwa v54, v55 dst_sel:DWORD dst_unused:UNUSED_PRESERVE src0_sel:BYTE_2// 00000001117C: 7E6C1CF9 00021637
	v_cvt_pk_fp8_f32 v56, v53, v54 op_sel:[0,0,1]              // 000000011184: D2A24038 00026D35
	v_cvt_off_f32_i4_sdwa v53, v55 dst_sel:DWORD dst_unused:UNUSED_PRESERVE src0_sel:BYTE_1// 00000001118C: 7E6A1CF9 00011637
	v_cvt_off_f32_i4_sdwa v54, v55 dst_sel:DWORD dst_unused:UNUSED_PRESERVE src0_sel:BYTE_3// 000000011194: 7E6C1CF9 00031637
	v_cvt_pk_fp8_f32 v57, v53, v54 op_sel:[0,0,1]              // 00000001119C: D2A24039 00026D35
	v_accvgpr_write_b32 a152, v56                              // 0000000111A4: D3D94098 18000138
	v_accvgpr_write_b32 a153, v57                              // 0000000111AC: D3D94099 18000139
	s_nop 3                                                    // 0000000111B4: BF800003
	v_mfma_f32_16x16x32_fp8_fp8 v[248:251], a[152:153], v[128:129], 0// 0000000111B8: D3F300F8 0A030198
	v_accvgpr_read_b32 v52, a205                               // 0000000111C0: D3D84034 180001CD
	v_cvt_off_f32_i4_e32 v53, v52                              // 0000000111C8: 7E6A1D34
	v_cvt_off_f32_i4_sdwa v54, v52 dst_sel:DWORD dst_unused:UNUSED_PRESERVE src0_sel:BYTE_2// 0000000111CC: 7E6C1CF9 00021634
	v_cvt_pk_fp8_f32 v56, v53, v54                             // 0000000111D4: D2A20038 00026D35
	v_cvt_off_f32_i4_sdwa v53, v52 dst_sel:DWORD dst_unused:UNUSED_PRESERVE src0_sel:BYTE_1// 0000000111DC: 7E6A1CF9 00011634
	v_cvt_off_f32_i4_sdwa v54, v52 dst_sel:DWORD dst_unused:UNUSED_PRESERVE src0_sel:BYTE_3// 0000000111E4: 7E6C1CF9 00031634
	v_cvt_pk_fp8_f32 v57, v53, v54                             // 0000000111EC: D2A20039 00026D35
	v_lshrrev_b32_e32 v55, 4, v52                              // 0000000111F4: 206E6884
	v_cvt_off_f32_i4_e32 v53, v55                              // 0000000111F8: 7E6A1D37
	v_cvt_off_f32_i4_sdwa v54, v55 dst_sel:DWORD dst_unused:UNUSED_PRESERVE src0_sel:BYTE_2// 0000000111FC: 7E6C1CF9 00021637
	v_cvt_pk_fp8_f32 v56, v53, v54 op_sel:[0,0,1]              // 000000011204: D2A24038 00026D35
	v_cvt_off_f32_i4_sdwa v53, v55 dst_sel:DWORD dst_unused:UNUSED_PRESERVE src0_sel:BYTE_1// 00000001120C: 7E6A1CF9 00011637
	v_cvt_off_f32_i4_sdwa v54, v55 dst_sel:DWORD dst_unused:UNUSED_PRESERVE src0_sel:BYTE_3// 000000011214: 7E6C1CF9 00031637
	v_cvt_pk_fp8_f32 v57, v53, v54 op_sel:[0,0,1]              // 00000001121C: D2A24039 00026D35
	v_accvgpr_write_b32 a154, v56                              // 000000011224: D3D9409A 18000138
	v_accvgpr_write_b32 a155, v57                              // 00000001122C: D3D9409B 18000139
	s_nop 3                                                    // 000000011234: BF800003
	v_mfma_f32_16x16x32_fp8_fp8 v[248:251], a[154:155], v[130:131], v[248:251]// 000000011238: D3F300F8 0FE3059A
	buffer_load_dwordx4 a[76:79], v45, s[12:15], 0 offen       // 000000011240: E05C1000 80834C2D
	s_add_u32 s12, s78, s12                                    // 000000011248: 800C0C4E
	s_addc_u32 s13, 0, s13                                     // 00000001124C: 820D0D80
	v_accvgpr_read_b32 v52, a206                               // 000000011250: D3D84034 180001CE
	v_cvt_off_f32_i4_e32 v53, v52                              // 000000011258: 7E6A1D34
	v_cvt_off_f32_i4_sdwa v54, v52 dst_sel:DWORD dst_unused:UNUSED_PRESERVE src0_sel:BYTE_2// 00000001125C: 7E6C1CF9 00021634
	v_cvt_pk_fp8_f32 v56, v53, v54                             // 000000011264: D2A20038 00026D35
	v_cvt_off_f32_i4_sdwa v53, v52 dst_sel:DWORD dst_unused:UNUSED_PRESERVE src0_sel:BYTE_1// 00000001126C: 7E6A1CF9 00011634
	v_cvt_off_f32_i4_sdwa v54, v52 dst_sel:DWORD dst_unused:UNUSED_PRESERVE src0_sel:BYTE_3// 000000011274: 7E6C1CF9 00031634
	v_cvt_pk_fp8_f32 v57, v53, v54                             // 00000001127C: D2A20039 00026D35
	v_lshrrev_b32_e32 v55, 4, v52                              // 000000011284: 206E6884
	v_cvt_off_f32_i4_e32 v53, v55                              // 000000011288: 7E6A1D37
	v_cvt_off_f32_i4_sdwa v54, v55 dst_sel:DWORD dst_unused:UNUSED_PRESERVE src0_sel:BYTE_2// 00000001128C: 7E6C1CF9 00021637
	v_cvt_pk_fp8_f32 v56, v53, v54 op_sel:[0,0,1]              // 000000011294: D2A24038 00026D35
	v_cvt_off_f32_i4_sdwa v53, v55 dst_sel:DWORD dst_unused:UNUSED_PRESERVE src0_sel:BYTE_1// 00000001129C: 7E6A1CF9 00011637
	v_cvt_off_f32_i4_sdwa v54, v55 dst_sel:DWORD dst_unused:UNUSED_PRESERVE src0_sel:BYTE_3// 0000000112A4: 7E6C1CF9 00031637
	v_cvt_pk_fp8_f32 v57, v53, v54 op_sel:[0,0,1]              // 0000000112AC: D2A24039 00026D35
	v_accvgpr_write_b32 a156, v56                              // 0000000112B4: D3D9409C 18000138
	v_accvgpr_write_b32 a157, v57                              // 0000000112BC: D3D9409D 18000139
	s_nop 3                                                    // 0000000112C4: BF800003
	v_mfma_f32_16x16x32_fp8_fp8 v[248:251], a[156:157], v[132:133], v[248:251]// 0000000112C8: D3F300F8 0FE3099C
	v_accvgpr_read_b32 v52, a207                               // 0000000112D0: D3D84034 180001CF
	v_cvt_off_f32_i4_e32 v53, v52                              // 0000000112D8: 7E6A1D34
	v_cvt_off_f32_i4_sdwa v54, v52 dst_sel:DWORD dst_unused:UNUSED_PRESERVE src0_sel:BYTE_2// 0000000112DC: 7E6C1CF9 00021634
	v_cvt_pk_fp8_f32 v56, v53, v54                             // 0000000112E4: D2A20038 00026D35
	v_cvt_off_f32_i4_sdwa v53, v52 dst_sel:DWORD dst_unused:UNUSED_PRESERVE src0_sel:BYTE_1// 0000000112EC: 7E6A1CF9 00011634
	v_cvt_off_f32_i4_sdwa v54, v52 dst_sel:DWORD dst_unused:UNUSED_PRESERVE src0_sel:BYTE_3// 0000000112F4: 7E6C1CF9 00031634
	v_cvt_pk_fp8_f32 v57, v53, v54                             // 0000000112FC: D2A20039 00026D35
	v_lshrrev_b32_e32 v55, 4, v52                              // 000000011304: 206E6884
	v_cvt_off_f32_i4_e32 v53, v55                              // 000000011308: 7E6A1D37
	v_cvt_off_f32_i4_sdwa v54, v55 dst_sel:DWORD dst_unused:UNUSED_PRESERVE src0_sel:BYTE_2// 00000001130C: 7E6C1CF9 00021637
	v_cvt_pk_fp8_f32 v56, v53, v54 op_sel:[0,0,1]              // 000000011314: D2A24038 00026D35
	v_cvt_off_f32_i4_sdwa v53, v55 dst_sel:DWORD dst_unused:UNUSED_PRESERVE src0_sel:BYTE_1// 00000001131C: 7E6A1CF9 00011637
	v_cvt_off_f32_i4_sdwa v54, v55 dst_sel:DWORD dst_unused:UNUSED_PRESERVE src0_sel:BYTE_3// 000000011324: 7E6C1CF9 00031637
	v_cvt_pk_fp8_f32 v57, v53, v54 op_sel:[0,0,1]              // 00000001132C: D2A24039 00026D35
	v_accvgpr_write_b32 a158, v56                              // 000000011334: D3D9409E 18000138
	v_accvgpr_write_b32 a159, v57                              // 00000001133C: D3D9409F 18000139
	s_nop 3                                                    // 000000011344: BF800003
	v_mfma_f32_16x16x32_fp8_fp8 v[248:251], a[158:159], v[134:135], v[248:251]// 000000011348: D3F300F8 0FE30D9E
	v_mfma_f32_16x16x32_fp8_fp8 v[252:255], a[152:153], v[160:161], 0// 000000011350: D3F300FC 0A034198
	v_mfma_f32_16x16x32_fp8_fp8 v[252:255], a[154:155], v[162:163], v[252:255]// 000000011358: D3F300FC 0FF3459A
	v_mfma_f32_16x16x32_fp8_fp8 v[252:255], a[156:157], v[164:165], v[252:255]// 000000011360: D3F300FC 0FF3499C
	v_mfma_f32_16x16x32_fp8_fp8 v[252:255], a[158:159], v[166:167], v[252:255]// 000000011368: D3F300FC 0FF34D9E
	s_waitcnt vmcnt(29)                                        // 000000011370: BF8C4F7D
	v_accvgpr_read_b32 v52, a208                               // 000000011374: D3D84034 180001D0
	v_cvt_off_f32_i4_e32 v53, v52                              // 00000001137C: 7E6A1D34
	v_cvt_off_f32_i4_sdwa v54, v52 dst_sel:DWORD dst_unused:UNUSED_PRESERVE src0_sel:BYTE_2// 000000011380: 7E6C1CF9 00021634
	v_cvt_pk_fp8_f32 v56, v53, v54                             // 000000011388: D2A20038 00026D35
	v_cvt_off_f32_i4_sdwa v53, v52 dst_sel:DWORD dst_unused:UNUSED_PRESERVE src0_sel:BYTE_1// 000000011390: 7E6A1CF9 00011634
	v_cvt_off_f32_i4_sdwa v54, v52 dst_sel:DWORD dst_unused:UNUSED_PRESERVE src0_sel:BYTE_3// 000000011398: 7E6C1CF9 00031634
	v_cvt_pk_fp8_f32 v57, v53, v54                             // 0000000113A0: D2A20039 00026D35
	v_lshrrev_b32_e32 v55, 4, v52                              // 0000000113A8: 206E6884
	v_cvt_off_f32_i4_e32 v53, v55                              // 0000000113AC: 7E6A1D37
	v_cvt_off_f32_i4_sdwa v54, v55 dst_sel:DWORD dst_unused:UNUSED_PRESERVE src0_sel:BYTE_2// 0000000113B0: 7E6C1CF9 00021637
	v_cvt_pk_fp8_f32 v56, v53, v54 op_sel:[0,0,1]              // 0000000113B8: D2A24038 00026D35
	v_cvt_off_f32_i4_sdwa v53, v55 dst_sel:DWORD dst_unused:UNUSED_PRESERVE src0_sel:BYTE_1// 0000000113C0: 7E6A1CF9 00011637
	v_cvt_off_f32_i4_sdwa v54, v55 dst_sel:DWORD dst_unused:UNUSED_PRESERVE src0_sel:BYTE_3// 0000000113C8: 7E6C1CF9 00031637
	v_cvt_pk_fp8_f32 v57, v53, v54 op_sel:[0,0,1]              // 0000000113D0: D2A24039 00026D35
	v_accvgpr_write_b32 a160, v56                              // 0000000113D8: D3D940A0 18000138
	v_accvgpr_write_b32 a161, v57                              // 0000000113E0: D3D940A1 18000139
	s_nop 3                                                    // 0000000113E8: BF800003
	v_mfma_f32_16x16x32_fp8_fp8 v[224:227], a[160:161], v[136:137], v[224:227]// 0000000113EC: D3F300E0 0F8311A0
	v_accvgpr_read_b32 v52, a209                               // 0000000113F4: D3D84034 180001D1
	v_cvt_off_f32_i4_e32 v53, v52                              // 0000000113FC: 7E6A1D34
	v_cvt_off_f32_i4_sdwa v54, v52 dst_sel:DWORD dst_unused:UNUSED_PRESERVE src0_sel:BYTE_2// 000000011400: 7E6C1CF9 00021634
	v_cvt_pk_fp8_f32 v56, v53, v54                             // 000000011408: D2A20038 00026D35
	v_cvt_off_f32_i4_sdwa v53, v52 dst_sel:DWORD dst_unused:UNUSED_PRESERVE src0_sel:BYTE_1// 000000011410: 7E6A1CF9 00011634
	v_cvt_off_f32_i4_sdwa v54, v52 dst_sel:DWORD dst_unused:UNUSED_PRESERVE src0_sel:BYTE_3// 000000011418: 7E6C1CF9 00031634
	v_cvt_pk_fp8_f32 v57, v53, v54                             // 000000011420: D2A20039 00026D35
	v_lshrrev_b32_e32 v55, 4, v52                              // 000000011428: 206E6884
	v_cvt_off_f32_i4_e32 v53, v55                              // 00000001142C: 7E6A1D37
	v_cvt_off_f32_i4_sdwa v54, v55 dst_sel:DWORD dst_unused:UNUSED_PRESERVE src0_sel:BYTE_2// 000000011430: 7E6C1CF9 00021637
	v_cvt_pk_fp8_f32 v56, v53, v54 op_sel:[0,0,1]              // 000000011438: D2A24038 00026D35
	v_cvt_off_f32_i4_sdwa v53, v55 dst_sel:DWORD dst_unused:UNUSED_PRESERVE src0_sel:BYTE_1// 000000011440: 7E6A1CF9 00011637
	v_cvt_off_f32_i4_sdwa v54, v55 dst_sel:DWORD dst_unused:UNUSED_PRESERVE src0_sel:BYTE_3// 000000011448: 7E6C1CF9 00031637
	v_cvt_pk_fp8_f32 v57, v53, v54 op_sel:[0,0,1]              // 000000011450: D2A24039 00026D35
	v_accvgpr_write_b32 a162, v56                              // 000000011458: D3D940A2 18000138
	v_accvgpr_write_b32 a163, v57                              // 000000011460: D3D940A3 18000139
	s_nop 3                                                    // 000000011468: BF800003
	v_mfma_f32_16x16x32_fp8_fp8 v[224:227], a[162:163], v[138:139], v[224:227]// 00000001146C: D3F300E0 0F8315A2
	buffer_load_dwordx4 a[80:83], v42, s[12:15], 0 offen       // 000000011474: E05C1000 8083502A
	v_accvgpr_read_b32 v52, a210                               // 00000001147C: D3D84034 180001D2
	v_cvt_off_f32_i4_e32 v53, v52                              // 000000011484: 7E6A1D34
	v_cvt_off_f32_i4_sdwa v54, v52 dst_sel:DWORD dst_unused:UNUSED_PRESERVE src0_sel:BYTE_2// 000000011488: 7E6C1CF9 00021634
	v_cvt_pk_fp8_f32 v56, v53, v54                             // 000000011490: D2A20038 00026D35
	v_cvt_off_f32_i4_sdwa v53, v52 dst_sel:DWORD dst_unused:UNUSED_PRESERVE src0_sel:BYTE_1// 000000011498: 7E6A1CF9 00011634
	v_cvt_off_f32_i4_sdwa v54, v52 dst_sel:DWORD dst_unused:UNUSED_PRESERVE src0_sel:BYTE_3// 0000000114A0: 7E6C1CF9 00031634
	v_cvt_pk_fp8_f32 v57, v53, v54                             // 0000000114A8: D2A20039 00026D35
	v_lshrrev_b32_e32 v55, 4, v52                              // 0000000114B0: 206E6884
	v_cvt_off_f32_i4_e32 v53, v55                              // 0000000114B4: 7E6A1D37
	v_cvt_off_f32_i4_sdwa v54, v55 dst_sel:DWORD dst_unused:UNUSED_PRESERVE src0_sel:BYTE_2// 0000000114B8: 7E6C1CF9 00021637
	v_cvt_pk_fp8_f32 v56, v53, v54 op_sel:[0,0,1]              // 0000000114C0: D2A24038 00026D35
	v_cvt_off_f32_i4_sdwa v53, v55 dst_sel:DWORD dst_unused:UNUSED_PRESERVE src0_sel:BYTE_1// 0000000114C8: 7E6A1CF9 00011637
	v_cvt_off_f32_i4_sdwa v54, v55 dst_sel:DWORD dst_unused:UNUSED_PRESERVE src0_sel:BYTE_3// 0000000114D0: 7E6C1CF9 00031637
	v_cvt_pk_fp8_f32 v57, v53, v54 op_sel:[0,0,1]              // 0000000114D8: D2A24039 00026D35
	v_accvgpr_write_b32 a164, v56                              // 0000000114E0: D3D940A4 18000138
	v_accvgpr_write_b32 a165, v57                              // 0000000114E8: D3D940A5 18000139
	s_nop 3                                                    // 0000000114F0: BF800003
	v_mfma_f32_16x16x32_fp8_fp8 v[224:227], a[164:165], v[140:141], v[224:227]// 0000000114F4: D3F300E0 0F8319A4
	v_accvgpr_read_b32 v52, a211                               // 0000000114FC: D3D84034 180001D3
	v_cvt_off_f32_i4_e32 v53, v52                              // 000000011504: 7E6A1D34
	v_cvt_off_f32_i4_sdwa v54, v52 dst_sel:DWORD dst_unused:UNUSED_PRESERVE src0_sel:BYTE_2// 000000011508: 7E6C1CF9 00021634
	v_cvt_pk_fp8_f32 v56, v53, v54                             // 000000011510: D2A20038 00026D35
	v_cvt_off_f32_i4_sdwa v53, v52 dst_sel:DWORD dst_unused:UNUSED_PRESERVE src0_sel:BYTE_1// 000000011518: 7E6A1CF9 00011634
	v_cvt_off_f32_i4_sdwa v54, v52 dst_sel:DWORD dst_unused:UNUSED_PRESERVE src0_sel:BYTE_3// 000000011520: 7E6C1CF9 00031634
	v_cvt_pk_fp8_f32 v57, v53, v54                             // 000000011528: D2A20039 00026D35
	v_lshrrev_b32_e32 v55, 4, v52                              // 000000011530: 206E6884
	v_cvt_off_f32_i4_e32 v53, v55                              // 000000011534: 7E6A1D37
	v_cvt_off_f32_i4_sdwa v54, v55 dst_sel:DWORD dst_unused:UNUSED_PRESERVE src0_sel:BYTE_2// 000000011538: 7E6C1CF9 00021637
	v_cvt_pk_fp8_f32 v56, v53, v54 op_sel:[0,0,1]              // 000000011540: D2A24038 00026D35
	v_cvt_off_f32_i4_sdwa v53, v55 dst_sel:DWORD dst_unused:UNUSED_PRESERVE src0_sel:BYTE_1// 000000011548: 7E6A1CF9 00011637
	v_cvt_off_f32_i4_sdwa v54, v55 dst_sel:DWORD dst_unused:UNUSED_PRESERVE src0_sel:BYTE_3// 000000011550: 7E6C1CF9 00031637
	v_cvt_pk_fp8_f32 v57, v53, v54 op_sel:[0,0,1]              // 000000011558: D2A24039 00026D35
	v_accvgpr_write_b32 a166, v56                              // 000000011560: D3D940A6 18000138
	v_accvgpr_write_b32 a167, v57                              // 000000011568: D3D940A7 18000139
	s_nop 3                                                    // 000000011570: BF800003
	v_mfma_f32_16x16x32_fp8_fp8 v[224:227], a[166:167], v[142:143], v[224:227]// 000000011574: D3F300E0 0F831DA6
	v_mfma_f32_16x16x32_fp8_fp8 v[228:231], a[160:161], v[168:169], v[228:231]// 00000001157C: D3F300E4 0F9351A0
	v_mfma_f32_16x16x32_fp8_fp8 v[228:231], a[162:163], v[170:171], v[228:231]// 000000011584: D3F300E4 0F9355A2
	v_mfma_f32_16x16x32_fp8_fp8 v[228:231], a[164:165], v[172:173], v[228:231]// 00000001158C: D3F300E4 0F9359A4
	v_mfma_f32_16x16x32_fp8_fp8 v[228:231], a[166:167], v[174:175], v[228:231]// 000000011594: D3F300E4 0F935DA6
	v_accvgpr_read_b32 v52, a212                               // 00000001159C: D3D84034 180001D4
	v_cvt_off_f32_i4_e32 v53, v52                              // 0000000115A4: 7E6A1D34
	v_cvt_off_f32_i4_sdwa v54, v52 dst_sel:DWORD dst_unused:UNUSED_PRESERVE src0_sel:BYTE_2// 0000000115A8: 7E6C1CF9 00021634
	v_cvt_pk_fp8_f32 v56, v53, v54                             // 0000000115B0: D2A20038 00026D35
	v_cvt_off_f32_i4_sdwa v53, v52 dst_sel:DWORD dst_unused:UNUSED_PRESERVE src0_sel:BYTE_1// 0000000115B8: 7E6A1CF9 00011634
	v_cvt_off_f32_i4_sdwa v54, v52 dst_sel:DWORD dst_unused:UNUSED_PRESERVE src0_sel:BYTE_3// 0000000115C0: 7E6C1CF9 00031634
	v_cvt_pk_fp8_f32 v57, v53, v54                             // 0000000115C8: D2A20039 00026D35
	v_lshrrev_b32_e32 v55, 4, v52                              // 0000000115D0: 206E6884
	v_cvt_off_f32_i4_e32 v53, v55                              // 0000000115D4: 7E6A1D37
	v_cvt_off_f32_i4_sdwa v54, v55 dst_sel:DWORD dst_unused:UNUSED_PRESERVE src0_sel:BYTE_2// 0000000115D8: 7E6C1CF9 00021637
	v_cvt_pk_fp8_f32 v56, v53, v54 op_sel:[0,0,1]              // 0000000115E0: D2A24038 00026D35
	v_cvt_off_f32_i4_sdwa v53, v55 dst_sel:DWORD dst_unused:UNUSED_PRESERVE src0_sel:BYTE_1// 0000000115E8: 7E6A1CF9 00011637
	v_cvt_off_f32_i4_sdwa v54, v55 dst_sel:DWORD dst_unused:UNUSED_PRESERVE src0_sel:BYTE_3// 0000000115F0: 7E6C1CF9 00031637
	v_cvt_pk_fp8_f32 v57, v53, v54 op_sel:[0,0,1]              // 0000000115F8: D2A24039 00026D35
	v_accvgpr_write_b32 a168, v56                              // 000000011600: D3D940A8 18000138
	v_accvgpr_write_b32 a169, v57                              // 000000011608: D3D940A9 18000139
	s_nop 3                                                    // 000000011610: BF800003
	v_mfma_f32_16x16x32_fp8_fp8 v[232:235], a[168:169], v[136:137], v[232:235]// 000000011614: D3F300E8 0FA311A8
	v_accvgpr_read_b32 v52, a213                               // 00000001161C: D3D84034 180001D5
	v_cvt_off_f32_i4_e32 v53, v52                              // 000000011624: 7E6A1D34
	v_cvt_off_f32_i4_sdwa v54, v52 dst_sel:DWORD dst_unused:UNUSED_PRESERVE src0_sel:BYTE_2// 000000011628: 7E6C1CF9 00021634
	v_cvt_pk_fp8_f32 v56, v53, v54                             // 000000011630: D2A20038 00026D35
	v_cvt_off_f32_i4_sdwa v53, v52 dst_sel:DWORD dst_unused:UNUSED_PRESERVE src0_sel:BYTE_1// 000000011638: 7E6A1CF9 00011634
	v_cvt_off_f32_i4_sdwa v54, v52 dst_sel:DWORD dst_unused:UNUSED_PRESERVE src0_sel:BYTE_3// 000000011640: 7E6C1CF9 00031634
	v_cvt_pk_fp8_f32 v57, v53, v54                             // 000000011648: D2A20039 00026D35
	v_lshrrev_b32_e32 v55, 4, v52                              // 000000011650: 206E6884
	v_cvt_off_f32_i4_e32 v53, v55                              // 000000011654: 7E6A1D37
	v_cvt_off_f32_i4_sdwa v54, v55 dst_sel:DWORD dst_unused:UNUSED_PRESERVE src0_sel:BYTE_2// 000000011658: 7E6C1CF9 00021637
	v_cvt_pk_fp8_f32 v56, v53, v54 op_sel:[0,0,1]              // 000000011660: D2A24038 00026D35
	v_cvt_off_f32_i4_sdwa v53, v55 dst_sel:DWORD dst_unused:UNUSED_PRESERVE src0_sel:BYTE_1// 000000011668: 7E6A1CF9 00011637
	v_cvt_off_f32_i4_sdwa v54, v55 dst_sel:DWORD dst_unused:UNUSED_PRESERVE src0_sel:BYTE_3// 000000011670: 7E6C1CF9 00031637
	v_cvt_pk_fp8_f32 v57, v53, v54 op_sel:[0,0,1]              // 000000011678: D2A24039 00026D35
	v_accvgpr_write_b32 a170, v56                              // 000000011680: D3D940AA 18000138
	v_accvgpr_write_b32 a171, v57                              // 000000011688: D3D940AB 18000139
	s_nop 3                                                    // 000000011690: BF800003
	v_mfma_f32_16x16x32_fp8_fp8 v[232:235], a[170:171], v[138:139], v[232:235]// 000000011694: D3F300E8 0FA315AA
	buffer_load_dwordx4 a[84:87], v43, s[12:15], 0 offen       // 00000001169C: E05C1000 8083542B
	v_accvgpr_read_b32 v52, a214                               // 0000000116A4: D3D84034 180001D6
	v_cvt_off_f32_i4_e32 v53, v52                              // 0000000116AC: 7E6A1D34
	v_cvt_off_f32_i4_sdwa v54, v52 dst_sel:DWORD dst_unused:UNUSED_PRESERVE src0_sel:BYTE_2// 0000000116B0: 7E6C1CF9 00021634
	v_cvt_pk_fp8_f32 v56, v53, v54                             // 0000000116B8: D2A20038 00026D35
	v_cvt_off_f32_i4_sdwa v53, v52 dst_sel:DWORD dst_unused:UNUSED_PRESERVE src0_sel:BYTE_1// 0000000116C0: 7E6A1CF9 00011634
	v_cvt_off_f32_i4_sdwa v54, v52 dst_sel:DWORD dst_unused:UNUSED_PRESERVE src0_sel:BYTE_3// 0000000116C8: 7E6C1CF9 00031634
	v_cvt_pk_fp8_f32 v57, v53, v54                             // 0000000116D0: D2A20039 00026D35
	v_lshrrev_b32_e32 v55, 4, v52                              // 0000000116D8: 206E6884
	v_cvt_off_f32_i4_e32 v53, v55                              // 0000000116DC: 7E6A1D37
	v_cvt_off_f32_i4_sdwa v54, v55 dst_sel:DWORD dst_unused:UNUSED_PRESERVE src0_sel:BYTE_2// 0000000116E0: 7E6C1CF9 00021637
	v_cvt_pk_fp8_f32 v56, v53, v54 op_sel:[0,0,1]              // 0000000116E8: D2A24038 00026D35
	v_cvt_off_f32_i4_sdwa v53, v55 dst_sel:DWORD dst_unused:UNUSED_PRESERVE src0_sel:BYTE_1// 0000000116F0: 7E6A1CF9 00011637
	v_cvt_off_f32_i4_sdwa v54, v55 dst_sel:DWORD dst_unused:UNUSED_PRESERVE src0_sel:BYTE_3// 0000000116F8: 7E6C1CF9 00031637
	v_cvt_pk_fp8_f32 v57, v53, v54 op_sel:[0,0,1]              // 000000011700: D2A24039 00026D35
	v_accvgpr_write_b32 a172, v56                              // 000000011708: D3D940AC 18000138
	v_accvgpr_write_b32 a173, v57                              // 000000011710: D3D940AD 18000139
	s_nop 3                                                    // 000000011718: BF800003
	v_mfma_f32_16x16x32_fp8_fp8 v[232:235], a[172:173], v[140:141], v[232:235]// 00000001171C: D3F300E8 0FA319AC
	v_accvgpr_read_b32 v52, a215                               // 000000011724: D3D84034 180001D7
	v_cvt_off_f32_i4_e32 v53, v52                              // 00000001172C: 7E6A1D34
	v_cvt_off_f32_i4_sdwa v54, v52 dst_sel:DWORD dst_unused:UNUSED_PRESERVE src0_sel:BYTE_2// 000000011730: 7E6C1CF9 00021634
	v_cvt_pk_fp8_f32 v56, v53, v54                             // 000000011738: D2A20038 00026D35
	v_cvt_off_f32_i4_sdwa v53, v52 dst_sel:DWORD dst_unused:UNUSED_PRESERVE src0_sel:BYTE_1// 000000011740: 7E6A1CF9 00011634
	v_cvt_off_f32_i4_sdwa v54, v52 dst_sel:DWORD dst_unused:UNUSED_PRESERVE src0_sel:BYTE_3// 000000011748: 7E6C1CF9 00031634
	v_cvt_pk_fp8_f32 v57, v53, v54                             // 000000011750: D2A20039 00026D35
	v_lshrrev_b32_e32 v55, 4, v52                              // 000000011758: 206E6884
	v_cvt_off_f32_i4_e32 v53, v55                              // 00000001175C: 7E6A1D37
	v_cvt_off_f32_i4_sdwa v54, v55 dst_sel:DWORD dst_unused:UNUSED_PRESERVE src0_sel:BYTE_2// 000000011760: 7E6C1CF9 00021637
	v_cvt_pk_fp8_f32 v56, v53, v54 op_sel:[0,0,1]              // 000000011768: D2A24038 00026D35
	v_cvt_off_f32_i4_sdwa v53, v55 dst_sel:DWORD dst_unused:UNUSED_PRESERVE src0_sel:BYTE_1// 000000011770: 7E6A1CF9 00011637
	v_cvt_off_f32_i4_sdwa v54, v55 dst_sel:DWORD dst_unused:UNUSED_PRESERVE src0_sel:BYTE_3// 000000011778: 7E6C1CF9 00031637
	v_cvt_pk_fp8_f32 v57, v53, v54 op_sel:[0,0,1]              // 000000011780: D2A24039 00026D35
	v_accvgpr_write_b32 a174, v56                              // 000000011788: D3D940AE 18000138
	v_accvgpr_write_b32 a175, v57                              // 000000011790: D3D940AF 18000139
	s_nop 3                                                    // 000000011798: BF800003
	v_mfma_f32_16x16x32_fp8_fp8 v[232:235], a[174:175], v[142:143], v[232:235]// 00000001179C: D3F300E8 0FA31DAE
	v_mfma_f32_16x16x32_fp8_fp8 v[236:239], a[168:169], v[168:169], v[236:239]// 0000000117A4: D3F300EC 0FB351A8
	v_mfma_f32_16x16x32_fp8_fp8 v[236:239], a[170:171], v[170:171], v[236:239]// 0000000117AC: D3F300EC 0FB355AA
	v_mfma_f32_16x16x32_fp8_fp8 v[236:239], a[172:173], v[172:173], v[236:239]// 0000000117B4: D3F300EC 0FB359AC
	v_mfma_f32_16x16x32_fp8_fp8 v[236:239], a[174:175], v[174:175], v[236:239]// 0000000117BC: D3F300EC 0FB35DAE
	v_accvgpr_read_b32 v52, a216                               // 0000000117C4: D3D84034 180001D8
	v_cvt_off_f32_i4_e32 v53, v52                              // 0000000117CC: 7E6A1D34
	v_cvt_off_f32_i4_sdwa v54, v52 dst_sel:DWORD dst_unused:UNUSED_PRESERVE src0_sel:BYTE_2// 0000000117D0: 7E6C1CF9 00021634
	v_cvt_pk_fp8_f32 v56, v53, v54                             // 0000000117D8: D2A20038 00026D35
	v_cvt_off_f32_i4_sdwa v53, v52 dst_sel:DWORD dst_unused:UNUSED_PRESERVE src0_sel:BYTE_1// 0000000117E0: 7E6A1CF9 00011634
	v_cvt_off_f32_i4_sdwa v54, v52 dst_sel:DWORD dst_unused:UNUSED_PRESERVE src0_sel:BYTE_3// 0000000117E8: 7E6C1CF9 00031634
	v_cvt_pk_fp8_f32 v57, v53, v54                             // 0000000117F0: D2A20039 00026D35
	v_lshrrev_b32_e32 v55, 4, v52                              // 0000000117F8: 206E6884
	v_cvt_off_f32_i4_e32 v53, v55                              // 0000000117FC: 7E6A1D37
	v_cvt_off_f32_i4_sdwa v54, v55 dst_sel:DWORD dst_unused:UNUSED_PRESERVE src0_sel:BYTE_2// 000000011800: 7E6C1CF9 00021637
	v_cvt_pk_fp8_f32 v56, v53, v54 op_sel:[0,0,1]              // 000000011808: D2A24038 00026D35
	v_cvt_off_f32_i4_sdwa v53, v55 dst_sel:DWORD dst_unused:UNUSED_PRESERVE src0_sel:BYTE_1// 000000011810: 7E6A1CF9 00011637
	v_cvt_off_f32_i4_sdwa v54, v55 dst_sel:DWORD dst_unused:UNUSED_PRESERVE src0_sel:BYTE_3// 000000011818: 7E6C1CF9 00031637
	v_cvt_pk_fp8_f32 v57, v53, v54 op_sel:[0,0,1]              // 000000011820: D2A24039 00026D35
	v_accvgpr_write_b32 a176, v56                              // 000000011828: D3D940B0 18000138
	v_accvgpr_write_b32 a177, v57                              // 000000011830: D3D940B1 18000139
	s_nop 3                                                    // 000000011838: BF800003
	v_mfma_f32_16x16x32_fp8_fp8 v[240:243], a[176:177], v[136:137], v[240:243]// 00000001183C: D3F300F0 0FC311B0
	v_accvgpr_read_b32 v52, a217                               // 000000011844: D3D84034 180001D9
	v_cvt_off_f32_i4_e32 v53, v52                              // 00000001184C: 7E6A1D34
	v_cvt_off_f32_i4_sdwa v54, v52 dst_sel:DWORD dst_unused:UNUSED_PRESERVE src0_sel:BYTE_2// 000000011850: 7E6C1CF9 00021634
	v_cvt_pk_fp8_f32 v56, v53, v54                             // 000000011858: D2A20038 00026D35
	v_cvt_off_f32_i4_sdwa v53, v52 dst_sel:DWORD dst_unused:UNUSED_PRESERVE src0_sel:BYTE_1// 000000011860: 7E6A1CF9 00011634
	v_cvt_off_f32_i4_sdwa v54, v52 dst_sel:DWORD dst_unused:UNUSED_PRESERVE src0_sel:BYTE_3// 000000011868: 7E6C1CF9 00031634
	v_cvt_pk_fp8_f32 v57, v53, v54                             // 000000011870: D2A20039 00026D35
	v_lshrrev_b32_e32 v55, 4, v52                              // 000000011878: 206E6884
	v_cvt_off_f32_i4_e32 v53, v55                              // 00000001187C: 7E6A1D37
	v_cvt_off_f32_i4_sdwa v54, v55 dst_sel:DWORD dst_unused:UNUSED_PRESERVE src0_sel:BYTE_2// 000000011880: 7E6C1CF9 00021637
	v_cvt_pk_fp8_f32 v56, v53, v54 op_sel:[0,0,1]              // 000000011888: D2A24038 00026D35
	v_cvt_off_f32_i4_sdwa v53, v55 dst_sel:DWORD dst_unused:UNUSED_PRESERVE src0_sel:BYTE_1// 000000011890: 7E6A1CF9 00011637
	v_cvt_off_f32_i4_sdwa v54, v55 dst_sel:DWORD dst_unused:UNUSED_PRESERVE src0_sel:BYTE_3// 000000011898: 7E6C1CF9 00031637
	v_cvt_pk_fp8_f32 v57, v53, v54 op_sel:[0,0,1]              // 0000000118A0: D2A24039 00026D35
	v_accvgpr_write_b32 a178, v56                              // 0000000118A8: D3D940B2 18000138
	v_accvgpr_write_b32 a179, v57                              // 0000000118B0: D3D940B3 18000139
	s_nop 3                                                    // 0000000118B8: BF800003
	v_mfma_f32_16x16x32_fp8_fp8 v[240:243], a[178:179], v[138:139], v[240:243]// 0000000118BC: D3F300F0 0FC315B2
	buffer_load_dwordx4 a[88:91], v44, s[12:15], 0 offen       // 0000000118C4: E05C1000 8083582C
	v_accvgpr_read_b32 v52, a218                               // 0000000118CC: D3D84034 180001DA
	v_cvt_off_f32_i4_e32 v53, v52                              // 0000000118D4: 7E6A1D34
	v_cvt_off_f32_i4_sdwa v54, v52 dst_sel:DWORD dst_unused:UNUSED_PRESERVE src0_sel:BYTE_2// 0000000118D8: 7E6C1CF9 00021634
	v_cvt_pk_fp8_f32 v56, v53, v54                             // 0000000118E0: D2A20038 00026D35
	v_cvt_off_f32_i4_sdwa v53, v52 dst_sel:DWORD dst_unused:UNUSED_PRESERVE src0_sel:BYTE_1// 0000000118E8: 7E6A1CF9 00011634
	v_cvt_off_f32_i4_sdwa v54, v52 dst_sel:DWORD dst_unused:UNUSED_PRESERVE src0_sel:BYTE_3// 0000000118F0: 7E6C1CF9 00031634
	v_cvt_pk_fp8_f32 v57, v53, v54                             // 0000000118F8: D2A20039 00026D35
	v_lshrrev_b32_e32 v55, 4, v52                              // 000000011900: 206E6884
	v_cvt_off_f32_i4_e32 v53, v55                              // 000000011904: 7E6A1D37
	v_cvt_off_f32_i4_sdwa v54, v55 dst_sel:DWORD dst_unused:UNUSED_PRESERVE src0_sel:BYTE_2// 000000011908: 7E6C1CF9 00021637
	v_cvt_pk_fp8_f32 v56, v53, v54 op_sel:[0,0,1]              // 000000011910: D2A24038 00026D35
	v_cvt_off_f32_i4_sdwa v53, v55 dst_sel:DWORD dst_unused:UNUSED_PRESERVE src0_sel:BYTE_1// 000000011918: 7E6A1CF9 00011637
	v_cvt_off_f32_i4_sdwa v54, v55 dst_sel:DWORD dst_unused:UNUSED_PRESERVE src0_sel:BYTE_3// 000000011920: 7E6C1CF9 00031637
	v_cvt_pk_fp8_f32 v57, v53, v54 op_sel:[0,0,1]              // 000000011928: D2A24039 00026D35
	v_accvgpr_write_b32 a180, v56                              // 000000011930: D3D940B4 18000138
	v_accvgpr_write_b32 a181, v57                              // 000000011938: D3D940B5 18000139
	s_nop 3                                                    // 000000011940: BF800003
	v_mfma_f32_16x16x32_fp8_fp8 v[240:243], a[180:181], v[140:141], v[240:243]// 000000011944: D3F300F0 0FC319B4
	v_accvgpr_read_b32 v52, a219                               // 00000001194C: D3D84034 180001DB
	v_cvt_off_f32_i4_e32 v53, v52                              // 000000011954: 7E6A1D34
	v_cvt_off_f32_i4_sdwa v54, v52 dst_sel:DWORD dst_unused:UNUSED_PRESERVE src0_sel:BYTE_2// 000000011958: 7E6C1CF9 00021634
	v_cvt_pk_fp8_f32 v56, v53, v54                             // 000000011960: D2A20038 00026D35
	v_cvt_off_f32_i4_sdwa v53, v52 dst_sel:DWORD dst_unused:UNUSED_PRESERVE src0_sel:BYTE_1// 000000011968: 7E6A1CF9 00011634
	v_cvt_off_f32_i4_sdwa v54, v52 dst_sel:DWORD dst_unused:UNUSED_PRESERVE src0_sel:BYTE_3// 000000011970: 7E6C1CF9 00031634
	v_cvt_pk_fp8_f32 v57, v53, v54                             // 000000011978: D2A20039 00026D35
	v_lshrrev_b32_e32 v55, 4, v52                              // 000000011980: 206E6884
	v_cvt_off_f32_i4_e32 v53, v55                              // 000000011984: 7E6A1D37
	v_cvt_off_f32_i4_sdwa v54, v55 dst_sel:DWORD dst_unused:UNUSED_PRESERVE src0_sel:BYTE_2// 000000011988: 7E6C1CF9 00021637
	v_cvt_pk_fp8_f32 v56, v53, v54 op_sel:[0,0,1]              // 000000011990: D2A24038 00026D35
	v_cvt_off_f32_i4_sdwa v53, v55 dst_sel:DWORD dst_unused:UNUSED_PRESERVE src0_sel:BYTE_1// 000000011998: 7E6A1CF9 00011637
	v_cvt_off_f32_i4_sdwa v54, v55 dst_sel:DWORD dst_unused:UNUSED_PRESERVE src0_sel:BYTE_3// 0000000119A0: 7E6C1CF9 00031637
	v_cvt_pk_fp8_f32 v57, v53, v54 op_sel:[0,0,1]              // 0000000119A8: D2A24039 00026D35
	v_accvgpr_write_b32 a182, v56                              // 0000000119B0: D3D940B6 18000138
	v_accvgpr_write_b32 a183, v57                              // 0000000119B8: D3D940B7 18000139
	s_nop 3                                                    // 0000000119C0: BF800003
	v_mfma_f32_16x16x32_fp8_fp8 v[240:243], a[182:183], v[142:143], v[240:243]// 0000000119C4: D3F300F0 0FC31DB6
	buffer_load_dword v12, v5, s[16:19], 0 offen               // 0000000119CC: E0501000 80040C05
	v_mfma_f32_16x16x32_fp8_fp8 v[244:247], a[176:177], v[168:169], v[244:247]// 0000000119D4: D3F300F4 0FD351B0
	v_mfma_f32_16x16x32_fp8_fp8 v[244:247], a[178:179], v[170:171], v[244:247]// 0000000119DC: D3F300F4 0FD355B2
	v_mfma_f32_16x16x32_fp8_fp8 v[244:247], a[180:181], v[172:173], v[244:247]// 0000000119E4: D3F300F4 0FD359B4
	v_mfma_f32_16x16x32_fp8_fp8 v[244:247], a[182:183], v[174:175], v[244:247]// 0000000119EC: D3F300F4 0FD35DB6
	v_accvgpr_read_b32 v52, a220                               // 0000000119F4: D3D84034 180001DC
	v_cvt_off_f32_i4_e32 v53, v52                              // 0000000119FC: 7E6A1D34
	v_cvt_off_f32_i4_sdwa v54, v52 dst_sel:DWORD dst_unused:UNUSED_PRESERVE src0_sel:BYTE_2// 000000011A00: 7E6C1CF9 00021634
	v_cvt_pk_fp8_f32 v56, v53, v54                             // 000000011A08: D2A20038 00026D35
	v_cvt_off_f32_i4_sdwa v53, v52 dst_sel:DWORD dst_unused:UNUSED_PRESERVE src0_sel:BYTE_1// 000000011A10: 7E6A1CF9 00011634
	v_cvt_off_f32_i4_sdwa v54, v52 dst_sel:DWORD dst_unused:UNUSED_PRESERVE src0_sel:BYTE_3// 000000011A18: 7E6C1CF9 00031634
	v_cvt_pk_fp8_f32 v57, v53, v54                             // 000000011A20: D2A20039 00026D35
	v_lshrrev_b32_e32 v55, 4, v52                              // 000000011A28: 206E6884
	v_cvt_off_f32_i4_e32 v53, v55                              // 000000011A2C: 7E6A1D37
	v_cvt_off_f32_i4_sdwa v54, v55 dst_sel:DWORD dst_unused:UNUSED_PRESERVE src0_sel:BYTE_2// 000000011A30: 7E6C1CF9 00021637
	v_cvt_pk_fp8_f32 v56, v53, v54 op_sel:[0,0,1]              // 000000011A38: D2A24038 00026D35
	v_cvt_off_f32_i4_sdwa v53, v55 dst_sel:DWORD dst_unused:UNUSED_PRESERVE src0_sel:BYTE_1// 000000011A40: 7E6A1CF9 00011637
	v_cvt_off_f32_i4_sdwa v54, v55 dst_sel:DWORD dst_unused:UNUSED_PRESERVE src0_sel:BYTE_3// 000000011A48: 7E6C1CF9 00031637
	v_cvt_pk_fp8_f32 v57, v53, v54 op_sel:[0,0,1]              // 000000011A50: D2A24039 00026D35
	v_accvgpr_write_b32 a184, v56                              // 000000011A58: D3D940B8 18000138
	v_accvgpr_write_b32 a185, v57                              // 000000011A60: D3D940B9 18000139
	s_nop 3                                                    // 000000011A68: BF800003
	v_mfma_f32_16x16x32_fp8_fp8 v[248:251], a[184:185], v[136:137], v[248:251]// 000000011A6C: D3F300F8 0FE311B8
	v_accvgpr_read_b32 v52, a221                               // 000000011A74: D3D84034 180001DD
	v_cvt_off_f32_i4_e32 v53, v52                              // 000000011A7C: 7E6A1D34
	v_cvt_off_f32_i4_sdwa v54, v52 dst_sel:DWORD dst_unused:UNUSED_PRESERVE src0_sel:BYTE_2// 000000011A80: 7E6C1CF9 00021634
	v_cvt_pk_fp8_f32 v56, v53, v54                             // 000000011A88: D2A20038 00026D35
	v_cvt_off_f32_i4_sdwa v53, v52 dst_sel:DWORD dst_unused:UNUSED_PRESERVE src0_sel:BYTE_1// 000000011A90: 7E6A1CF9 00011634
	v_cvt_off_f32_i4_sdwa v54, v52 dst_sel:DWORD dst_unused:UNUSED_PRESERVE src0_sel:BYTE_3// 000000011A98: 7E6C1CF9 00031634
	v_cvt_pk_fp8_f32 v57, v53, v54                             // 000000011AA0: D2A20039 00026D35
	v_lshrrev_b32_e32 v55, 4, v52                              // 000000011AA8: 206E6884
	v_cvt_off_f32_i4_e32 v53, v55                              // 000000011AAC: 7E6A1D37
	v_cvt_off_f32_i4_sdwa v54, v55 dst_sel:DWORD dst_unused:UNUSED_PRESERVE src0_sel:BYTE_2// 000000011AB0: 7E6C1CF9 00021637
	v_cvt_pk_fp8_f32 v56, v53, v54 op_sel:[0,0,1]              // 000000011AB8: D2A24038 00026D35
	v_cvt_off_f32_i4_sdwa v53, v55 dst_sel:DWORD dst_unused:UNUSED_PRESERVE src0_sel:BYTE_1// 000000011AC0: 7E6A1CF9 00011637
	v_cvt_off_f32_i4_sdwa v54, v55 dst_sel:DWORD dst_unused:UNUSED_PRESERVE src0_sel:BYTE_3// 000000011AC8: 7E6C1CF9 00031637
	v_cvt_pk_fp8_f32 v57, v53, v54 op_sel:[0,0,1]              // 000000011AD0: D2A24039 00026D35
	v_accvgpr_write_b32 a186, v56                              // 000000011AD8: D3D940BA 18000138
	v_accvgpr_write_b32 a187, v57                              // 000000011AE0: D3D940BB 18000139
	s_nop 3                                                    // 000000011AE8: BF800003
	v_mfma_f32_16x16x32_fp8_fp8 v[248:251], a[186:187], v[138:139], v[248:251]// 000000011AEC: D3F300F8 0FE315BA
	buffer_load_dwordx4 a[92:95], v45, s[12:15], 0 offen       // 000000011AF4: E05C1000 80835C2D
	s_add_u32 s12, s78, s12                                    // 000000011AFC: 800C0C4E
	s_addc_u32 s13, 0, s13                                     // 000000011B00: 820D0D80
	v_accvgpr_read_b32 v52, a222                               // 000000011B04: D3D84034 180001DE
	v_cvt_off_f32_i4_e32 v53, v52                              // 000000011B0C: 7E6A1D34
	v_cvt_off_f32_i4_sdwa v54, v52 dst_sel:DWORD dst_unused:UNUSED_PRESERVE src0_sel:BYTE_2// 000000011B10: 7E6C1CF9 00021634
	v_cvt_pk_fp8_f32 v56, v53, v54                             // 000000011B18: D2A20038 00026D35
	v_cvt_off_f32_i4_sdwa v53, v52 dst_sel:DWORD dst_unused:UNUSED_PRESERVE src0_sel:BYTE_1// 000000011B20: 7E6A1CF9 00011634
	v_cvt_off_f32_i4_sdwa v54, v52 dst_sel:DWORD dst_unused:UNUSED_PRESERVE src0_sel:BYTE_3// 000000011B28: 7E6C1CF9 00031634
	v_cvt_pk_fp8_f32 v57, v53, v54                             // 000000011B30: D2A20039 00026D35
	v_lshrrev_b32_e32 v55, 4, v52                              // 000000011B38: 206E6884
	v_cvt_off_f32_i4_e32 v53, v55                              // 000000011B3C: 7E6A1D37
	v_cvt_off_f32_i4_sdwa v54, v55 dst_sel:DWORD dst_unused:UNUSED_PRESERVE src0_sel:BYTE_2// 000000011B40: 7E6C1CF9 00021637
	v_cvt_pk_fp8_f32 v56, v53, v54 op_sel:[0,0,1]              // 000000011B48: D2A24038 00026D35
	v_cvt_off_f32_i4_sdwa v53, v55 dst_sel:DWORD dst_unused:UNUSED_PRESERVE src0_sel:BYTE_1// 000000011B50: 7E6A1CF9 00011637
	v_cvt_off_f32_i4_sdwa v54, v55 dst_sel:DWORD dst_unused:UNUSED_PRESERVE src0_sel:BYTE_3// 000000011B58: 7E6C1CF9 00031637
	v_cvt_pk_fp8_f32 v57, v53, v54 op_sel:[0,0,1]              // 000000011B60: D2A24039 00026D35
	v_accvgpr_write_b32 a188, v56                              // 000000011B68: D3D940BC 18000138
	v_accvgpr_write_b32 a189, v57                              // 000000011B70: D3D940BD 18000139
	s_nop 3                                                    // 000000011B78: BF800003
	v_mfma_f32_16x16x32_fp8_fp8 v[248:251], a[188:189], v[140:141], v[248:251]// 000000011B7C: D3F300F8 0FE319BC
	v_accvgpr_read_b32 v52, a223                               // 000000011B84: D3D84034 180001DF
	v_cvt_off_f32_i4_e32 v53, v52                              // 000000011B8C: 7E6A1D34
	v_cvt_off_f32_i4_sdwa v54, v52 dst_sel:DWORD dst_unused:UNUSED_PRESERVE src0_sel:BYTE_2// 000000011B90: 7E6C1CF9 00021634
	v_cvt_pk_fp8_f32 v56, v53, v54                             // 000000011B98: D2A20038 00026D35
	v_cvt_off_f32_i4_sdwa v53, v52 dst_sel:DWORD dst_unused:UNUSED_PRESERVE src0_sel:BYTE_1// 000000011BA0: 7E6A1CF9 00011634
	v_cvt_off_f32_i4_sdwa v54, v52 dst_sel:DWORD dst_unused:UNUSED_PRESERVE src0_sel:BYTE_3// 000000011BA8: 7E6C1CF9 00031634
	v_cvt_pk_fp8_f32 v57, v53, v54                             // 000000011BB0: D2A20039 00026D35
	v_lshrrev_b32_e32 v55, 4, v52                              // 000000011BB8: 206E6884
	v_cvt_off_f32_i4_e32 v53, v55                              // 000000011BBC: 7E6A1D37
	v_cvt_off_f32_i4_sdwa v54, v55 dst_sel:DWORD dst_unused:UNUSED_PRESERVE src0_sel:BYTE_2// 000000011BC0: 7E6C1CF9 00021637
	v_cvt_pk_fp8_f32 v56, v53, v54 op_sel:[0,0,1]              // 000000011BC8: D2A24038 00026D35
	v_cvt_off_f32_i4_sdwa v53, v55 dst_sel:DWORD dst_unused:UNUSED_PRESERVE src0_sel:BYTE_1// 000000011BD0: 7E6A1CF9 00011637
	v_cvt_off_f32_i4_sdwa v54, v55 dst_sel:DWORD dst_unused:UNUSED_PRESERVE src0_sel:BYTE_3// 000000011BD8: 7E6C1CF9 00031637
	v_cvt_pk_fp8_f32 v57, v53, v54 op_sel:[0,0,1]              // 000000011BE0: D2A24039 00026D35
	v_accvgpr_write_b32 a190, v56                              // 000000011BE8: D3D940BE 18000138
	v_accvgpr_write_b32 a191, v57                              // 000000011BF0: D3D940BF 18000139
	s_nop 3                                                    // 000000011BF8: BF800003
	v_mfma_f32_16x16x32_fp8_fp8 v[248:251], a[190:191], v[142:143], v[248:251]// 000000011BFC: D3F300F8 0FE31DBE
	v_mfma_f32_16x16x32_fp8_fp8 v[252:255], a[184:185], v[168:169], v[252:255]// 000000011C04: D3F300FC 0FF351B8
	v_mfma_f32_16x16x32_fp8_fp8 v[252:255], a[186:187], v[170:171], v[252:255]// 000000011C0C: D3F300FC 0FF355BA
	v_mfma_f32_16x16x32_fp8_fp8 v[252:255], a[188:189], v[172:173], v[252:255]// 000000011C14: D3F300FC 0FF359BC
	v_mfma_f32_16x16x32_fp8_fp8 v[252:255], a[190:191], v[174:175], v[252:255]// 000000011C1C: D3F300FC 0FF35DBE
	s_waitcnt vmcnt(28)                                        // 000000011C24: BF8C4F7C
	v_accvgpr_read_b32 v52, a224                               // 000000011C28: D3D84034 180001E0
	v_cvt_off_f32_i4_e32 v53, v52                              // 000000011C30: 7E6A1D34
	v_cvt_off_f32_i4_sdwa v54, v52 dst_sel:DWORD dst_unused:UNUSED_PRESERVE src0_sel:BYTE_2// 000000011C34: 7E6C1CF9 00021634
	v_cvt_pk_fp8_f32 v56, v53, v54                             // 000000011C3C: D2A20038 00026D35
	v_cvt_off_f32_i4_sdwa v53, v52 dst_sel:DWORD dst_unused:UNUSED_PRESERVE src0_sel:BYTE_1// 000000011C44: 7E6A1CF9 00011634
	v_cvt_off_f32_i4_sdwa v54, v52 dst_sel:DWORD dst_unused:UNUSED_PRESERVE src0_sel:BYTE_3// 000000011C4C: 7E6C1CF9 00031634
	v_cvt_pk_fp8_f32 v57, v53, v54                             // 000000011C54: D2A20039 00026D35
	v_lshrrev_b32_e32 v55, 4, v52                              // 000000011C5C: 206E6884
	v_cvt_off_f32_i4_e32 v53, v55                              // 000000011C60: 7E6A1D37
	v_cvt_off_f32_i4_sdwa v54, v55 dst_sel:DWORD dst_unused:UNUSED_PRESERVE src0_sel:BYTE_2// 000000011C64: 7E6C1CF9 00021637
	v_cvt_pk_fp8_f32 v56, v53, v54 op_sel:[0,0,1]              // 000000011C6C: D2A24038 00026D35
	v_cvt_off_f32_i4_sdwa v53, v55 dst_sel:DWORD dst_unused:UNUSED_PRESERVE src0_sel:BYTE_1// 000000011C74: 7E6A1CF9 00011637
	v_cvt_off_f32_i4_sdwa v54, v55 dst_sel:DWORD dst_unused:UNUSED_PRESERVE src0_sel:BYTE_3// 000000011C7C: 7E6C1CF9 00031637
	v_cvt_pk_fp8_f32 v57, v53, v54 op_sel:[0,0,1]              // 000000011C84: D2A24039 00026D35
	v_accvgpr_write_b32 a192, v56                              // 000000011C8C: D3D940C0 18000138
	v_accvgpr_write_b32 a193, v57                              // 000000011C94: D3D940C1 18000139
	s_nop 3                                                    // 000000011C9C: BF800003
	v_mfma_f32_16x16x32_fp8_fp8 v[224:227], a[192:193], v[144:145], v[224:227]// 000000011CA0: D3F300E0 0F8321C0
	v_accvgpr_read_b32 v52, a225                               // 000000011CA8: D3D84034 180001E1
	v_cvt_off_f32_i4_e32 v53, v52                              // 000000011CB0: 7E6A1D34
	v_cvt_off_f32_i4_sdwa v54, v52 dst_sel:DWORD dst_unused:UNUSED_PRESERVE src0_sel:BYTE_2// 000000011CB4: 7E6C1CF9 00021634
	v_cvt_pk_fp8_f32 v56, v53, v54                             // 000000011CBC: D2A20038 00026D35
	v_cvt_off_f32_i4_sdwa v53, v52 dst_sel:DWORD dst_unused:UNUSED_PRESERVE src0_sel:BYTE_1// 000000011CC4: 7E6A1CF9 00011634
	v_cvt_off_f32_i4_sdwa v54, v52 dst_sel:DWORD dst_unused:UNUSED_PRESERVE src0_sel:BYTE_3// 000000011CCC: 7E6C1CF9 00031634
	v_cvt_pk_fp8_f32 v57, v53, v54                             // 000000011CD4: D2A20039 00026D35
	v_lshrrev_b32_e32 v55, 4, v52                              // 000000011CDC: 206E6884
	v_cvt_off_f32_i4_e32 v53, v55                              // 000000011CE0: 7E6A1D37
	v_cvt_off_f32_i4_sdwa v54, v55 dst_sel:DWORD dst_unused:UNUSED_PRESERVE src0_sel:BYTE_2// 000000011CE4: 7E6C1CF9 00021637
	v_cvt_pk_fp8_f32 v56, v53, v54 op_sel:[0,0,1]              // 000000011CEC: D2A24038 00026D35
	v_cvt_off_f32_i4_sdwa v53, v55 dst_sel:DWORD dst_unused:UNUSED_PRESERVE src0_sel:BYTE_1// 000000011CF4: 7E6A1CF9 00011637
	v_cvt_off_f32_i4_sdwa v54, v55 dst_sel:DWORD dst_unused:UNUSED_PRESERVE src0_sel:BYTE_3// 000000011CFC: 7E6C1CF9 00031637
	v_cvt_pk_fp8_f32 v57, v53, v54 op_sel:[0,0,1]              // 000000011D04: D2A24039 00026D35
	v_accvgpr_write_b32 a194, v56                              // 000000011D0C: D3D940C2 18000138
	v_accvgpr_write_b32 a195, v57                              // 000000011D14: D3D940C3 18000139
	s_nop 3                                                    // 000000011D1C: BF800003
	v_mfma_f32_16x16x32_fp8_fp8 v[224:227], a[194:195], v[146:147], v[224:227]// 000000011D20: D3F300E0 0F8325C2
	buffer_load_dwordx4 a[96:99], v42, s[12:15], 0 offen       // 000000011D28: E05C1000 8083602A
	v_accvgpr_read_b32 v52, a226                               // 000000011D30: D3D84034 180001E2
	v_cvt_off_f32_i4_e32 v53, v52                              // 000000011D38: 7E6A1D34
	v_cvt_off_f32_i4_sdwa v54, v52 dst_sel:DWORD dst_unused:UNUSED_PRESERVE src0_sel:BYTE_2// 000000011D3C: 7E6C1CF9 00021634
	v_cvt_pk_fp8_f32 v56, v53, v54                             // 000000011D44: D2A20038 00026D35
	v_cvt_off_f32_i4_sdwa v53, v52 dst_sel:DWORD dst_unused:UNUSED_PRESERVE src0_sel:BYTE_1// 000000011D4C: 7E6A1CF9 00011634
	v_cvt_off_f32_i4_sdwa v54, v52 dst_sel:DWORD dst_unused:UNUSED_PRESERVE src0_sel:BYTE_3// 000000011D54: 7E6C1CF9 00031634
	v_cvt_pk_fp8_f32 v57, v53, v54                             // 000000011D5C: D2A20039 00026D35
	v_lshrrev_b32_e32 v55, 4, v52                              // 000000011D64: 206E6884
	v_cvt_off_f32_i4_e32 v53, v55                              // 000000011D68: 7E6A1D37
	v_cvt_off_f32_i4_sdwa v54, v55 dst_sel:DWORD dst_unused:UNUSED_PRESERVE src0_sel:BYTE_2// 000000011D6C: 7E6C1CF9 00021637
	v_cvt_pk_fp8_f32 v56, v53, v54 op_sel:[0,0,1]              // 000000011D74: D2A24038 00026D35
	v_cvt_off_f32_i4_sdwa v53, v55 dst_sel:DWORD dst_unused:UNUSED_PRESERVE src0_sel:BYTE_1// 000000011D7C: 7E6A1CF9 00011637
	v_cvt_off_f32_i4_sdwa v54, v55 dst_sel:DWORD dst_unused:UNUSED_PRESERVE src0_sel:BYTE_3// 000000011D84: 7E6C1CF9 00031637
	v_cvt_pk_fp8_f32 v57, v53, v54 op_sel:[0,0,1]              // 000000011D8C: D2A24039 00026D35
	v_accvgpr_write_b32 a196, v56                              // 000000011D94: D3D940C4 18000138
	v_accvgpr_write_b32 a197, v57                              // 000000011D9C: D3D940C5 18000139
	s_nop 3                                                    // 000000011DA4: BF800003
	v_mfma_f32_16x16x32_fp8_fp8 v[224:227], a[196:197], v[148:149], v[224:227]// 000000011DA8: D3F300E0 0F8329C4
	v_accvgpr_read_b32 v52, a227                               // 000000011DB0: D3D84034 180001E3
	v_cvt_off_f32_i4_e32 v53, v52                              // 000000011DB8: 7E6A1D34
	v_cvt_off_f32_i4_sdwa v54, v52 dst_sel:DWORD dst_unused:UNUSED_PRESERVE src0_sel:BYTE_2// 000000011DBC: 7E6C1CF9 00021634
	v_cvt_pk_fp8_f32 v56, v53, v54                             // 000000011DC4: D2A20038 00026D35
	v_cvt_off_f32_i4_sdwa v53, v52 dst_sel:DWORD dst_unused:UNUSED_PRESERVE src0_sel:BYTE_1// 000000011DCC: 7E6A1CF9 00011634
	v_cvt_off_f32_i4_sdwa v54, v52 dst_sel:DWORD dst_unused:UNUSED_PRESERVE src0_sel:BYTE_3// 000000011DD4: 7E6C1CF9 00031634
	v_cvt_pk_fp8_f32 v57, v53, v54                             // 000000011DDC: D2A20039 00026D35
	v_lshrrev_b32_e32 v55, 4, v52                              // 000000011DE4: 206E6884
	v_cvt_off_f32_i4_e32 v53, v55                              // 000000011DE8: 7E6A1D37
	v_cvt_off_f32_i4_sdwa v54, v55 dst_sel:DWORD dst_unused:UNUSED_PRESERVE src0_sel:BYTE_2// 000000011DEC: 7E6C1CF9 00021637
	v_cvt_pk_fp8_f32 v56, v53, v54 op_sel:[0,0,1]              // 000000011DF4: D2A24038 00026D35
	v_cvt_off_f32_i4_sdwa v53, v55 dst_sel:DWORD dst_unused:UNUSED_PRESERVE src0_sel:BYTE_1// 000000011DFC: 7E6A1CF9 00011637
	v_cvt_off_f32_i4_sdwa v54, v55 dst_sel:DWORD dst_unused:UNUSED_PRESERVE src0_sel:BYTE_3// 000000011E04: 7E6C1CF9 00031637
	v_cvt_pk_fp8_f32 v57, v53, v54 op_sel:[0,0,1]              // 000000011E0C: D2A24039 00026D35
	v_accvgpr_write_b32 a198, v56                              // 000000011E14: D3D940C6 18000138
	v_accvgpr_write_b32 a199, v57                              // 000000011E1C: D3D940C7 18000139
	s_nop 3                                                    // 000000011E24: BF800003
	v_mfma_f32_16x16x32_fp8_fp8 v[224:227], a[198:199], v[150:151], v[224:227]// 000000011E28: D3F300E0 0F832DC6
	v_mfma_f32_16x16x32_fp8_fp8 v[228:231], a[192:193], v[176:177], v[228:231]// 000000011E30: D3F300E4 0F9361C0
	v_mfma_f32_16x16x32_fp8_fp8 v[228:231], a[194:195], v[178:179], v[228:231]// 000000011E38: D3F300E4 0F9365C2
	v_mfma_f32_16x16x32_fp8_fp8 v[228:231], a[196:197], v[180:181], v[228:231]// 000000011E40: D3F300E4 0F9369C4
	v_mfma_f32_16x16x32_fp8_fp8 v[228:231], a[198:199], v[182:183], v[228:231]// 000000011E48: D3F300E4 0F936DC6
	v_accvgpr_read_b32 v52, a228                               // 000000011E50: D3D84034 180001E4
	v_cvt_off_f32_i4_e32 v53, v52                              // 000000011E58: 7E6A1D34
	v_cvt_off_f32_i4_sdwa v54, v52 dst_sel:DWORD dst_unused:UNUSED_PRESERVE src0_sel:BYTE_2// 000000011E5C: 7E6C1CF9 00021634
	v_cvt_pk_fp8_f32 v56, v53, v54                             // 000000011E64: D2A20038 00026D35
	v_cvt_off_f32_i4_sdwa v53, v52 dst_sel:DWORD dst_unused:UNUSED_PRESERVE src0_sel:BYTE_1// 000000011E6C: 7E6A1CF9 00011634
	v_cvt_off_f32_i4_sdwa v54, v52 dst_sel:DWORD dst_unused:UNUSED_PRESERVE src0_sel:BYTE_3// 000000011E74: 7E6C1CF9 00031634
	v_cvt_pk_fp8_f32 v57, v53, v54                             // 000000011E7C: D2A20039 00026D35
	v_lshrrev_b32_e32 v55, 4, v52                              // 000000011E84: 206E6884
	v_cvt_off_f32_i4_e32 v53, v55                              // 000000011E88: 7E6A1D37
	v_cvt_off_f32_i4_sdwa v54, v55 dst_sel:DWORD dst_unused:UNUSED_PRESERVE src0_sel:BYTE_2// 000000011E8C: 7E6C1CF9 00021637
	v_cvt_pk_fp8_f32 v56, v53, v54 op_sel:[0,0,1]              // 000000011E94: D2A24038 00026D35
	v_cvt_off_f32_i4_sdwa v53, v55 dst_sel:DWORD dst_unused:UNUSED_PRESERVE src0_sel:BYTE_1// 000000011E9C: 7E6A1CF9 00011637
	v_cvt_off_f32_i4_sdwa v54, v55 dst_sel:DWORD dst_unused:UNUSED_PRESERVE src0_sel:BYTE_3// 000000011EA4: 7E6C1CF9 00031637
	v_cvt_pk_fp8_f32 v57, v53, v54 op_sel:[0,0,1]              // 000000011EAC: D2A24039 00026D35
	v_accvgpr_write_b32 a200, v56                              // 000000011EB4: D3D940C8 18000138
	v_accvgpr_write_b32 a201, v57                              // 000000011EBC: D3D940C9 18000139
	s_nop 3                                                    // 000000011EC4: BF800003
	v_mfma_f32_16x16x32_fp8_fp8 v[232:235], a[200:201], v[144:145], v[232:235]// 000000011EC8: D3F300E8 0FA321C8
	v_accvgpr_read_b32 v52, a229                               // 000000011ED0: D3D84034 180001E5
	v_cvt_off_f32_i4_e32 v53, v52                              // 000000011ED8: 7E6A1D34
	v_cvt_off_f32_i4_sdwa v54, v52 dst_sel:DWORD dst_unused:UNUSED_PRESERVE src0_sel:BYTE_2// 000000011EDC: 7E6C1CF9 00021634
	v_cvt_pk_fp8_f32 v56, v53, v54                             // 000000011EE4: D2A20038 00026D35
	v_cvt_off_f32_i4_sdwa v53, v52 dst_sel:DWORD dst_unused:UNUSED_PRESERVE src0_sel:BYTE_1// 000000011EEC: 7E6A1CF9 00011634
	v_cvt_off_f32_i4_sdwa v54, v52 dst_sel:DWORD dst_unused:UNUSED_PRESERVE src0_sel:BYTE_3// 000000011EF4: 7E6C1CF9 00031634
	v_cvt_pk_fp8_f32 v57, v53, v54                             // 000000011EFC: D2A20039 00026D35
	v_lshrrev_b32_e32 v55, 4, v52                              // 000000011F04: 206E6884
	v_cvt_off_f32_i4_e32 v53, v55                              // 000000011F08: 7E6A1D37
	v_cvt_off_f32_i4_sdwa v54, v55 dst_sel:DWORD dst_unused:UNUSED_PRESERVE src0_sel:BYTE_2// 000000011F0C: 7E6C1CF9 00021637
	v_cvt_pk_fp8_f32 v56, v53, v54 op_sel:[0,0,1]              // 000000011F14: D2A24038 00026D35
	v_cvt_off_f32_i4_sdwa v53, v55 dst_sel:DWORD dst_unused:UNUSED_PRESERVE src0_sel:BYTE_1// 000000011F1C: 7E6A1CF9 00011637
	v_cvt_off_f32_i4_sdwa v54, v55 dst_sel:DWORD dst_unused:UNUSED_PRESERVE src0_sel:BYTE_3// 000000011F24: 7E6C1CF9 00031637
	v_cvt_pk_fp8_f32 v57, v53, v54 op_sel:[0,0,1]              // 000000011F2C: D2A24039 00026D35
	v_accvgpr_write_b32 a202, v56                              // 000000011F34: D3D940CA 18000138
	v_accvgpr_write_b32 a203, v57                              // 000000011F3C: D3D940CB 18000139
	s_nop 3                                                    // 000000011F44: BF800003
	v_mfma_f32_16x16x32_fp8_fp8 v[232:235], a[202:203], v[146:147], v[232:235]// 000000011F48: D3F300E8 0FA325CA
	buffer_load_dwordx4 a[100:103], v43, s[12:15], 0 offen     // 000000011F50: E05C1000 8083642B
	v_accvgpr_read_b32 v52, a230                               // 000000011F58: D3D84034 180001E6
	v_cvt_off_f32_i4_e32 v53, v52                              // 000000011F60: 7E6A1D34
	v_cvt_off_f32_i4_sdwa v54, v52 dst_sel:DWORD dst_unused:UNUSED_PRESERVE src0_sel:BYTE_2// 000000011F64: 7E6C1CF9 00021634
	v_cvt_pk_fp8_f32 v56, v53, v54                             // 000000011F6C: D2A20038 00026D35
	v_cvt_off_f32_i4_sdwa v53, v52 dst_sel:DWORD dst_unused:UNUSED_PRESERVE src0_sel:BYTE_1// 000000011F74: 7E6A1CF9 00011634
	v_cvt_off_f32_i4_sdwa v54, v52 dst_sel:DWORD dst_unused:UNUSED_PRESERVE src0_sel:BYTE_3// 000000011F7C: 7E6C1CF9 00031634
	v_cvt_pk_fp8_f32 v57, v53, v54                             // 000000011F84: D2A20039 00026D35
	v_lshrrev_b32_e32 v55, 4, v52                              // 000000011F8C: 206E6884
	v_cvt_off_f32_i4_e32 v53, v55                              // 000000011F90: 7E6A1D37
	v_cvt_off_f32_i4_sdwa v54, v55 dst_sel:DWORD dst_unused:UNUSED_PRESERVE src0_sel:BYTE_2// 000000011F94: 7E6C1CF9 00021637
	v_cvt_pk_fp8_f32 v56, v53, v54 op_sel:[0,0,1]              // 000000011F9C: D2A24038 00026D35
	v_cvt_off_f32_i4_sdwa v53, v55 dst_sel:DWORD dst_unused:UNUSED_PRESERVE src0_sel:BYTE_1// 000000011FA4: 7E6A1CF9 00011637
	v_cvt_off_f32_i4_sdwa v54, v55 dst_sel:DWORD dst_unused:UNUSED_PRESERVE src0_sel:BYTE_3// 000000011FAC: 7E6C1CF9 00031637
	v_cvt_pk_fp8_f32 v57, v53, v54 op_sel:[0,0,1]              // 000000011FB4: D2A24039 00026D35
	v_accvgpr_write_b32 a204, v56                              // 000000011FBC: D3D940CC 18000138
	v_accvgpr_write_b32 a205, v57                              // 000000011FC4: D3D940CD 18000139
	s_nop 3                                                    // 000000011FCC: BF800003
	v_mfma_f32_16x16x32_fp8_fp8 v[232:235], a[204:205], v[148:149], v[232:235]// 000000011FD0: D3F300E8 0FA329CC
	v_accvgpr_read_b32 v52, a231                               // 000000011FD8: D3D84034 180001E7
	v_cvt_off_f32_i4_e32 v53, v52                              // 000000011FE0: 7E6A1D34
	v_cvt_off_f32_i4_sdwa v54, v52 dst_sel:DWORD dst_unused:UNUSED_PRESERVE src0_sel:BYTE_2// 000000011FE4: 7E6C1CF9 00021634
	v_cvt_pk_fp8_f32 v56, v53, v54                             // 000000011FEC: D2A20038 00026D35
	v_cvt_off_f32_i4_sdwa v53, v52 dst_sel:DWORD dst_unused:UNUSED_PRESERVE src0_sel:BYTE_1// 000000011FF4: 7E6A1CF9 00011634
	v_cvt_off_f32_i4_sdwa v54, v52 dst_sel:DWORD dst_unused:UNUSED_PRESERVE src0_sel:BYTE_3// 000000011FFC: 7E6C1CF9 00031634
	v_cvt_pk_fp8_f32 v57, v53, v54                             // 000000012004: D2A20039 00026D35
	v_lshrrev_b32_e32 v55, 4, v52                              // 00000001200C: 206E6884
	v_cvt_off_f32_i4_e32 v53, v55                              // 000000012010: 7E6A1D37
	v_cvt_off_f32_i4_sdwa v54, v55 dst_sel:DWORD dst_unused:UNUSED_PRESERVE src0_sel:BYTE_2// 000000012014: 7E6C1CF9 00021637
	v_cvt_pk_fp8_f32 v56, v53, v54 op_sel:[0,0,1]              // 00000001201C: D2A24038 00026D35
	v_cvt_off_f32_i4_sdwa v53, v55 dst_sel:DWORD dst_unused:UNUSED_PRESERVE src0_sel:BYTE_1// 000000012024: 7E6A1CF9 00011637
	v_cvt_off_f32_i4_sdwa v54, v55 dst_sel:DWORD dst_unused:UNUSED_PRESERVE src0_sel:BYTE_3// 00000001202C: 7E6C1CF9 00031637
	v_cvt_pk_fp8_f32 v57, v53, v54 op_sel:[0,0,1]              // 000000012034: D2A24039 00026D35
	v_accvgpr_write_b32 a206, v56                              // 00000001203C: D3D940CE 18000138
	v_accvgpr_write_b32 a207, v57                              // 000000012044: D3D940CF 18000139
	s_nop 3                                                    // 00000001204C: BF800003
	v_mfma_f32_16x16x32_fp8_fp8 v[232:235], a[206:207], v[150:151], v[232:235]// 000000012050: D3F300E8 0FA32DCE
	v_mfma_f32_16x16x32_fp8_fp8 v[236:239], a[200:201], v[176:177], v[236:239]// 000000012058: D3F300EC 0FB361C8
	v_mfma_f32_16x16x32_fp8_fp8 v[236:239], a[202:203], v[178:179], v[236:239]// 000000012060: D3F300EC 0FB365CA
	v_mfma_f32_16x16x32_fp8_fp8 v[236:239], a[204:205], v[180:181], v[236:239]// 000000012068: D3F300EC 0FB369CC
	v_mfma_f32_16x16x32_fp8_fp8 v[236:239], a[206:207], v[182:183], v[236:239]// 000000012070: D3F300EC 0FB36DCE
	v_accvgpr_read_b32 v52, a232                               // 000000012078: D3D84034 180001E8
	v_cvt_off_f32_i4_e32 v53, v52                              // 000000012080: 7E6A1D34
	v_cvt_off_f32_i4_sdwa v54, v52 dst_sel:DWORD dst_unused:UNUSED_PRESERVE src0_sel:BYTE_2// 000000012084: 7E6C1CF9 00021634
	v_cvt_pk_fp8_f32 v56, v53, v54                             // 00000001208C: D2A20038 00026D35
	v_cvt_off_f32_i4_sdwa v53, v52 dst_sel:DWORD dst_unused:UNUSED_PRESERVE src0_sel:BYTE_1// 000000012094: 7E6A1CF9 00011634
	v_cvt_off_f32_i4_sdwa v54, v52 dst_sel:DWORD dst_unused:UNUSED_PRESERVE src0_sel:BYTE_3// 00000001209C: 7E6C1CF9 00031634
	v_cvt_pk_fp8_f32 v57, v53, v54                             // 0000000120A4: D2A20039 00026D35
	v_lshrrev_b32_e32 v55, 4, v52                              // 0000000120AC: 206E6884
	v_cvt_off_f32_i4_e32 v53, v55                              // 0000000120B0: 7E6A1D37
	v_cvt_off_f32_i4_sdwa v54, v55 dst_sel:DWORD dst_unused:UNUSED_PRESERVE src0_sel:BYTE_2// 0000000120B4: 7E6C1CF9 00021637
	v_cvt_pk_fp8_f32 v56, v53, v54 op_sel:[0,0,1]              // 0000000120BC: D2A24038 00026D35
	v_cvt_off_f32_i4_sdwa v53, v55 dst_sel:DWORD dst_unused:UNUSED_PRESERVE src0_sel:BYTE_1// 0000000120C4: 7E6A1CF9 00011637
	v_cvt_off_f32_i4_sdwa v54, v55 dst_sel:DWORD dst_unused:UNUSED_PRESERVE src0_sel:BYTE_3// 0000000120CC: 7E6C1CF9 00031637
	v_cvt_pk_fp8_f32 v57, v53, v54 op_sel:[0,0,1]              // 0000000120D4: D2A24039 00026D35
	v_accvgpr_write_b32 a208, v56                              // 0000000120DC: D3D940D0 18000138
	v_accvgpr_write_b32 a209, v57                              // 0000000120E4: D3D940D1 18000139
	s_nop 3                                                    // 0000000120EC: BF800003
	v_mfma_f32_16x16x32_fp8_fp8 v[240:243], a[208:209], v[144:145], v[240:243]// 0000000120F0: D3F300F0 0FC321D0
	v_accvgpr_read_b32 v52, a233                               // 0000000120F8: D3D84034 180001E9
	v_cvt_off_f32_i4_e32 v53, v52                              // 000000012100: 7E6A1D34
	v_cvt_off_f32_i4_sdwa v54, v52 dst_sel:DWORD dst_unused:UNUSED_PRESERVE src0_sel:BYTE_2// 000000012104: 7E6C1CF9 00021634
	v_cvt_pk_fp8_f32 v56, v53, v54                             // 00000001210C: D2A20038 00026D35
	v_cvt_off_f32_i4_sdwa v53, v52 dst_sel:DWORD dst_unused:UNUSED_PRESERVE src0_sel:BYTE_1// 000000012114: 7E6A1CF9 00011634
	v_cvt_off_f32_i4_sdwa v54, v52 dst_sel:DWORD dst_unused:UNUSED_PRESERVE src0_sel:BYTE_3// 00000001211C: 7E6C1CF9 00031634
	v_cvt_pk_fp8_f32 v57, v53, v54                             // 000000012124: D2A20039 00026D35
	v_lshrrev_b32_e32 v55, 4, v52                              // 00000001212C: 206E6884
	v_cvt_off_f32_i4_e32 v53, v55                              // 000000012130: 7E6A1D37
	v_cvt_off_f32_i4_sdwa v54, v55 dst_sel:DWORD dst_unused:UNUSED_PRESERVE src0_sel:BYTE_2// 000000012134: 7E6C1CF9 00021637
	v_cvt_pk_fp8_f32 v56, v53, v54 op_sel:[0,0,1]              // 00000001213C: D2A24038 00026D35
	v_cvt_off_f32_i4_sdwa v53, v55 dst_sel:DWORD dst_unused:UNUSED_PRESERVE src0_sel:BYTE_1// 000000012144: 7E6A1CF9 00011637
	v_cvt_off_f32_i4_sdwa v54, v55 dst_sel:DWORD dst_unused:UNUSED_PRESERVE src0_sel:BYTE_3// 00000001214C: 7E6C1CF9 00031637
	v_cvt_pk_fp8_f32 v57, v53, v54 op_sel:[0,0,1]              // 000000012154: D2A24039 00026D35
	v_accvgpr_write_b32 a210, v56                              // 00000001215C: D3D940D2 18000138
	v_accvgpr_write_b32 a211, v57                              // 000000012164: D3D940D3 18000139
	s_nop 3                                                    // 00000001216C: BF800003
	v_mfma_f32_16x16x32_fp8_fp8 v[240:243], a[210:211], v[146:147], v[240:243]// 000000012170: D3F300F0 0FC325D2
	buffer_load_dwordx4 a[104:107], v44, s[12:15], 0 offen     // 000000012178: E05C1000 8083682C
	v_accvgpr_read_b32 v52, a234                               // 000000012180: D3D84034 180001EA
	v_cvt_off_f32_i4_e32 v53, v52                              // 000000012188: 7E6A1D34
	v_cvt_off_f32_i4_sdwa v54, v52 dst_sel:DWORD dst_unused:UNUSED_PRESERVE src0_sel:BYTE_2// 00000001218C: 7E6C1CF9 00021634
	v_cvt_pk_fp8_f32 v56, v53, v54                             // 000000012194: D2A20038 00026D35
	v_cvt_off_f32_i4_sdwa v53, v52 dst_sel:DWORD dst_unused:UNUSED_PRESERVE src0_sel:BYTE_1// 00000001219C: 7E6A1CF9 00011634
	v_cvt_off_f32_i4_sdwa v54, v52 dst_sel:DWORD dst_unused:UNUSED_PRESERVE src0_sel:BYTE_3// 0000000121A4: 7E6C1CF9 00031634
	v_cvt_pk_fp8_f32 v57, v53, v54                             // 0000000121AC: D2A20039 00026D35
	v_lshrrev_b32_e32 v55, 4, v52                              // 0000000121B4: 206E6884
	v_cvt_off_f32_i4_e32 v53, v55                              // 0000000121B8: 7E6A1D37
	v_cvt_off_f32_i4_sdwa v54, v55 dst_sel:DWORD dst_unused:UNUSED_PRESERVE src0_sel:BYTE_2// 0000000121BC: 7E6C1CF9 00021637
	v_cvt_pk_fp8_f32 v56, v53, v54 op_sel:[0,0,1]              // 0000000121C4: D2A24038 00026D35
	v_cvt_off_f32_i4_sdwa v53, v55 dst_sel:DWORD dst_unused:UNUSED_PRESERVE src0_sel:BYTE_1// 0000000121CC: 7E6A1CF9 00011637
	v_cvt_off_f32_i4_sdwa v54, v55 dst_sel:DWORD dst_unused:UNUSED_PRESERVE src0_sel:BYTE_3// 0000000121D4: 7E6C1CF9 00031637
	v_cvt_pk_fp8_f32 v57, v53, v54 op_sel:[0,0,1]              // 0000000121DC: D2A24039 00026D35
	v_accvgpr_write_b32 a212, v56                              // 0000000121E4: D3D940D4 18000138
	v_accvgpr_write_b32 a213, v57                              // 0000000121EC: D3D940D5 18000139
	s_nop 3                                                    // 0000000121F4: BF800003
	v_mfma_f32_16x16x32_fp8_fp8 v[240:243], a[212:213], v[148:149], v[240:243]// 0000000121F8: D3F300F0 0FC329D4
	v_accvgpr_read_b32 v52, a235                               // 000000012200: D3D84034 180001EB
	v_cvt_off_f32_i4_e32 v53, v52                              // 000000012208: 7E6A1D34
	v_cvt_off_f32_i4_sdwa v54, v52 dst_sel:DWORD dst_unused:UNUSED_PRESERVE src0_sel:BYTE_2// 00000001220C: 7E6C1CF9 00021634
	v_cvt_pk_fp8_f32 v56, v53, v54                             // 000000012214: D2A20038 00026D35
	v_cvt_off_f32_i4_sdwa v53, v52 dst_sel:DWORD dst_unused:UNUSED_PRESERVE src0_sel:BYTE_1// 00000001221C: 7E6A1CF9 00011634
	v_cvt_off_f32_i4_sdwa v54, v52 dst_sel:DWORD dst_unused:UNUSED_PRESERVE src0_sel:BYTE_3// 000000012224: 7E6C1CF9 00031634
	v_cvt_pk_fp8_f32 v57, v53, v54                             // 00000001222C: D2A20039 00026D35
	v_lshrrev_b32_e32 v55, 4, v52                              // 000000012234: 206E6884
	v_cvt_off_f32_i4_e32 v53, v55                              // 000000012238: 7E6A1D37
	v_cvt_off_f32_i4_sdwa v54, v55 dst_sel:DWORD dst_unused:UNUSED_PRESERVE src0_sel:BYTE_2// 00000001223C: 7E6C1CF9 00021637
	v_cvt_pk_fp8_f32 v56, v53, v54 op_sel:[0,0,1]              // 000000012244: D2A24038 00026D35
	v_cvt_off_f32_i4_sdwa v53, v55 dst_sel:DWORD dst_unused:UNUSED_PRESERVE src0_sel:BYTE_1// 00000001224C: 7E6A1CF9 00011637
	v_cvt_off_f32_i4_sdwa v54, v55 dst_sel:DWORD dst_unused:UNUSED_PRESERVE src0_sel:BYTE_3// 000000012254: 7E6C1CF9 00031637
	v_cvt_pk_fp8_f32 v57, v53, v54 op_sel:[0,0,1]              // 00000001225C: D2A24039 00026D35
	v_accvgpr_write_b32 a214, v56                              // 000000012264: D3D940D6 18000138
	v_accvgpr_write_b32 a215, v57                              // 00000001226C: D3D940D7 18000139
	s_nop 3                                                    // 000000012274: BF800003
	v_mfma_f32_16x16x32_fp8_fp8 v[240:243], a[214:215], v[150:151], v[240:243]// 000000012278: D3F300F0 0FC32DD6
	v_mfma_f32_16x16x32_fp8_fp8 v[244:247], a[208:209], v[176:177], v[244:247]// 000000012280: D3F300F4 0FD361D0
	v_mfma_f32_16x16x32_fp8_fp8 v[244:247], a[210:211], v[178:179], v[244:247]// 000000012288: D3F300F4 0FD365D2
	v_mfma_f32_16x16x32_fp8_fp8 v[244:247], a[212:213], v[180:181], v[244:247]// 000000012290: D3F300F4 0FD369D4
	v_mfma_f32_16x16x32_fp8_fp8 v[244:247], a[214:215], v[182:183], v[244:247]// 000000012298: D3F300F4 0FD36DD6
	v_accvgpr_read_b32 v52, a236                               // 0000000122A0: D3D84034 180001EC
	v_cvt_off_f32_i4_e32 v53, v52                              // 0000000122A8: 7E6A1D34
	v_cvt_off_f32_i4_sdwa v54, v52 dst_sel:DWORD dst_unused:UNUSED_PRESERVE src0_sel:BYTE_2// 0000000122AC: 7E6C1CF9 00021634
	v_cvt_pk_fp8_f32 v56, v53, v54                             // 0000000122B4: D2A20038 00026D35
	v_cvt_off_f32_i4_sdwa v53, v52 dst_sel:DWORD dst_unused:UNUSED_PRESERVE src0_sel:BYTE_1// 0000000122BC: 7E6A1CF9 00011634
	v_cvt_off_f32_i4_sdwa v54, v52 dst_sel:DWORD dst_unused:UNUSED_PRESERVE src0_sel:BYTE_3// 0000000122C4: 7E6C1CF9 00031634
	v_cvt_pk_fp8_f32 v57, v53, v54                             // 0000000122CC: D2A20039 00026D35
	v_lshrrev_b32_e32 v55, 4, v52                              // 0000000122D4: 206E6884
	v_cvt_off_f32_i4_e32 v53, v55                              // 0000000122D8: 7E6A1D37
	v_cvt_off_f32_i4_sdwa v54, v55 dst_sel:DWORD dst_unused:UNUSED_PRESERVE src0_sel:BYTE_2// 0000000122DC: 7E6C1CF9 00021637
	v_cvt_pk_fp8_f32 v56, v53, v54 op_sel:[0,0,1]              // 0000000122E4: D2A24038 00026D35
	v_cvt_off_f32_i4_sdwa v53, v55 dst_sel:DWORD dst_unused:UNUSED_PRESERVE src0_sel:BYTE_1// 0000000122EC: 7E6A1CF9 00011637
	v_cvt_off_f32_i4_sdwa v54, v55 dst_sel:DWORD dst_unused:UNUSED_PRESERVE src0_sel:BYTE_3// 0000000122F4: 7E6C1CF9 00031637
	v_cvt_pk_fp8_f32 v57, v53, v54 op_sel:[0,0,1]              // 0000000122FC: D2A24039 00026D35
	v_accvgpr_write_b32 a216, v56                              // 000000012304: D3D940D8 18000138
	v_accvgpr_write_b32 a217, v57                              // 00000001230C: D3D940D9 18000139
	s_nop 3                                                    // 000000012314: BF800003
	v_mfma_f32_16x16x32_fp8_fp8 v[248:251], a[216:217], v[144:145], v[248:251]// 000000012318: D3F300F8 0FE321D8
	v_accvgpr_read_b32 v52, a237                               // 000000012320: D3D84034 180001ED
	v_cvt_off_f32_i4_e32 v53, v52                              // 000000012328: 7E6A1D34
	v_cvt_off_f32_i4_sdwa v54, v52 dst_sel:DWORD dst_unused:UNUSED_PRESERVE src0_sel:BYTE_2// 00000001232C: 7E6C1CF9 00021634
	v_cvt_pk_fp8_f32 v56, v53, v54                             // 000000012334: D2A20038 00026D35
	v_cvt_off_f32_i4_sdwa v53, v52 dst_sel:DWORD dst_unused:UNUSED_PRESERVE src0_sel:BYTE_1// 00000001233C: 7E6A1CF9 00011634
	v_cvt_off_f32_i4_sdwa v54, v52 dst_sel:DWORD dst_unused:UNUSED_PRESERVE src0_sel:BYTE_3// 000000012344: 7E6C1CF9 00031634
	v_cvt_pk_fp8_f32 v57, v53, v54                             // 00000001234C: D2A20039 00026D35
	v_lshrrev_b32_e32 v55, 4, v52                              // 000000012354: 206E6884
	v_cvt_off_f32_i4_e32 v53, v55                              // 000000012358: 7E6A1D37
	v_cvt_off_f32_i4_sdwa v54, v55 dst_sel:DWORD dst_unused:UNUSED_PRESERVE src0_sel:BYTE_2// 00000001235C: 7E6C1CF9 00021637
	v_cvt_pk_fp8_f32 v56, v53, v54 op_sel:[0,0,1]              // 000000012364: D2A24038 00026D35
	v_cvt_off_f32_i4_sdwa v53, v55 dst_sel:DWORD dst_unused:UNUSED_PRESERVE src0_sel:BYTE_1// 00000001236C: 7E6A1CF9 00011637
	v_cvt_off_f32_i4_sdwa v54, v55 dst_sel:DWORD dst_unused:UNUSED_PRESERVE src0_sel:BYTE_3// 000000012374: 7E6C1CF9 00031637
	v_cvt_pk_fp8_f32 v57, v53, v54 op_sel:[0,0,1]              // 00000001237C: D2A24039 00026D35
	v_accvgpr_write_b32 a218, v56                              // 000000012384: D3D940DA 18000138
	v_accvgpr_write_b32 a219, v57                              // 00000001238C: D3D940DB 18000139
	s_nop 3                                                    // 000000012394: BF800003
	v_mfma_f32_16x16x32_fp8_fp8 v[248:251], a[218:219], v[146:147], v[248:251]// 000000012398: D3F300F8 0FE325DA
	buffer_load_dwordx4 a[108:111], v45, s[12:15], 0 offen     // 0000000123A0: E05C1000 80836C2D
	s_add_u32 s12, s78, s12                                    // 0000000123A8: 800C0C4E
	s_addc_u32 s13, 0, s13                                     // 0000000123AC: 820D0D80
	v_accvgpr_read_b32 v52, a238                               // 0000000123B0: D3D84034 180001EE
	v_cvt_off_f32_i4_e32 v53, v52                              // 0000000123B8: 7E6A1D34
	v_cvt_off_f32_i4_sdwa v54, v52 dst_sel:DWORD dst_unused:UNUSED_PRESERVE src0_sel:BYTE_2// 0000000123BC: 7E6C1CF9 00021634
	v_cvt_pk_fp8_f32 v56, v53, v54                             // 0000000123C4: D2A20038 00026D35
	v_cvt_off_f32_i4_sdwa v53, v52 dst_sel:DWORD dst_unused:UNUSED_PRESERVE src0_sel:BYTE_1// 0000000123CC: 7E6A1CF9 00011634
	v_cvt_off_f32_i4_sdwa v54, v52 dst_sel:DWORD dst_unused:UNUSED_PRESERVE src0_sel:BYTE_3// 0000000123D4: 7E6C1CF9 00031634
	v_cvt_pk_fp8_f32 v57, v53, v54                             // 0000000123DC: D2A20039 00026D35
	v_lshrrev_b32_e32 v55, 4, v52                              // 0000000123E4: 206E6884
	v_cvt_off_f32_i4_e32 v53, v55                              // 0000000123E8: 7E6A1D37
	v_cvt_off_f32_i4_sdwa v54, v55 dst_sel:DWORD dst_unused:UNUSED_PRESERVE src0_sel:BYTE_2// 0000000123EC: 7E6C1CF9 00021637
	v_cvt_pk_fp8_f32 v56, v53, v54 op_sel:[0,0,1]              // 0000000123F4: D2A24038 00026D35
	v_cvt_off_f32_i4_sdwa v53, v55 dst_sel:DWORD dst_unused:UNUSED_PRESERVE src0_sel:BYTE_1// 0000000123FC: 7E6A1CF9 00011637
	v_cvt_off_f32_i4_sdwa v54, v55 dst_sel:DWORD dst_unused:UNUSED_PRESERVE src0_sel:BYTE_3// 000000012404: 7E6C1CF9 00031637
	v_cvt_pk_fp8_f32 v57, v53, v54 op_sel:[0,0,1]              // 00000001240C: D2A24039 00026D35
	v_accvgpr_write_b32 a220, v56                              // 000000012414: D3D940DC 18000138
	v_accvgpr_write_b32 a221, v57                              // 00000001241C: D3D940DD 18000139
	s_nop 3                                                    // 000000012424: BF800003
	v_mfma_f32_16x16x32_fp8_fp8 v[248:251], a[220:221], v[148:149], v[248:251]// 000000012428: D3F300F8 0FE329DC
	v_accvgpr_read_b32 v52, a239                               // 000000012430: D3D84034 180001EF
	v_cvt_off_f32_i4_e32 v53, v52                              // 000000012438: 7E6A1D34
	v_cvt_off_f32_i4_sdwa v54, v52 dst_sel:DWORD dst_unused:UNUSED_PRESERVE src0_sel:BYTE_2// 00000001243C: 7E6C1CF9 00021634
	v_cvt_pk_fp8_f32 v56, v53, v54                             // 000000012444: D2A20038 00026D35
	v_cvt_off_f32_i4_sdwa v53, v52 dst_sel:DWORD dst_unused:UNUSED_PRESERVE src0_sel:BYTE_1// 00000001244C: 7E6A1CF9 00011634
	v_cvt_off_f32_i4_sdwa v54, v52 dst_sel:DWORD dst_unused:UNUSED_PRESERVE src0_sel:BYTE_3// 000000012454: 7E6C1CF9 00031634
	v_cvt_pk_fp8_f32 v57, v53, v54                             // 00000001245C: D2A20039 00026D35
	v_lshrrev_b32_e32 v55, 4, v52                              // 000000012464: 206E6884
	v_cvt_off_f32_i4_e32 v53, v55                              // 000000012468: 7E6A1D37
	v_cvt_off_f32_i4_sdwa v54, v55 dst_sel:DWORD dst_unused:UNUSED_PRESERVE src0_sel:BYTE_2// 00000001246C: 7E6C1CF9 00021637
	v_cvt_pk_fp8_f32 v56, v53, v54 op_sel:[0,0,1]              // 000000012474: D2A24038 00026D35
	v_cvt_off_f32_i4_sdwa v53, v55 dst_sel:DWORD dst_unused:UNUSED_PRESERVE src0_sel:BYTE_1// 00000001247C: 7E6A1CF9 00011637
	v_cvt_off_f32_i4_sdwa v54, v55 dst_sel:DWORD dst_unused:UNUSED_PRESERVE src0_sel:BYTE_3// 000000012484: 7E6C1CF9 00031637
	v_cvt_pk_fp8_f32 v57, v53, v54 op_sel:[0,0,1]              // 00000001248C: D2A24039 00026D35
	v_accvgpr_write_b32 a222, v56                              // 000000012494: D3D940DE 18000138
	v_accvgpr_write_b32 a223, v57                              // 00000001249C: D3D940DF 18000139
	s_nop 3                                                    // 0000000124A4: BF800003
	v_mfma_f32_16x16x32_fp8_fp8 v[248:251], a[222:223], v[150:151], v[248:251]// 0000000124A8: D3F300F8 0FE32DDE
	v_mfma_f32_16x16x32_fp8_fp8 v[252:255], a[216:217], v[176:177], v[252:255]// 0000000124B0: D3F300FC 0FF361D8
	v_mfma_f32_16x16x32_fp8_fp8 v[252:255], a[218:219], v[178:179], v[252:255]// 0000000124B8: D3F300FC 0FF365DA
	v_mfma_f32_16x16x32_fp8_fp8 v[252:255], a[220:221], v[180:181], v[252:255]// 0000000124C0: D3F300FC 0FF369DC
	v_mfma_f32_16x16x32_fp8_fp8 v[252:255], a[222:223], v[182:183], v[252:255]// 0000000124C8: D3F300FC 0FF36DDE
	s_waitcnt vmcnt(28)                                        // 0000000124D0: BF8C4F7C
	v_accvgpr_read_b32 v52, a240                               // 0000000124D4: D3D84034 180001F0
	v_cvt_off_f32_i4_e32 v53, v52                              // 0000000124DC: 7E6A1D34
	v_cvt_off_f32_i4_sdwa v54, v52 dst_sel:DWORD dst_unused:UNUSED_PRESERVE src0_sel:BYTE_2// 0000000124E0: 7E6C1CF9 00021634
	v_cvt_pk_fp8_f32 v56, v53, v54                             // 0000000124E8: D2A20038 00026D35
	v_cvt_off_f32_i4_sdwa v53, v52 dst_sel:DWORD dst_unused:UNUSED_PRESERVE src0_sel:BYTE_1// 0000000124F0: 7E6A1CF9 00011634
	v_cvt_off_f32_i4_sdwa v54, v52 dst_sel:DWORD dst_unused:UNUSED_PRESERVE src0_sel:BYTE_3// 0000000124F8: 7E6C1CF9 00031634
	v_cvt_pk_fp8_f32 v57, v53, v54                             // 000000012500: D2A20039 00026D35
	v_lshrrev_b32_e32 v55, 4, v52                              // 000000012508: 206E6884
	v_cvt_off_f32_i4_e32 v53, v55                              // 00000001250C: 7E6A1D37
	v_cvt_off_f32_i4_sdwa v54, v55 dst_sel:DWORD dst_unused:UNUSED_PRESERVE src0_sel:BYTE_2// 000000012510: 7E6C1CF9 00021637
	v_cvt_pk_fp8_f32 v56, v53, v54 op_sel:[0,0,1]              // 000000012518: D2A24038 00026D35
	v_cvt_off_f32_i4_sdwa v53, v55 dst_sel:DWORD dst_unused:UNUSED_PRESERVE src0_sel:BYTE_1// 000000012520: 7E6A1CF9 00011637
	v_cvt_off_f32_i4_sdwa v54, v55 dst_sel:DWORD dst_unused:UNUSED_PRESERVE src0_sel:BYTE_3// 000000012528: 7E6C1CF9 00031637
	v_cvt_pk_fp8_f32 v57, v53, v54 op_sel:[0,0,1]              // 000000012530: D2A24039 00026D35
	v_accvgpr_write_b32 a224, v56                              // 000000012538: D3D940E0 18000138
	v_accvgpr_write_b32 a225, v57                              // 000000012540: D3D940E1 18000139
	s_nop 3                                                    // 000000012548: BF800003
	v_mfma_f32_16x16x32_fp8_fp8 v[224:227], a[224:225], v[152:153], v[224:227]// 00000001254C: D3F300E0 0F8331E0
	v_accvgpr_read_b32 v52, a241                               // 000000012554: D3D84034 180001F1
	v_cvt_off_f32_i4_e32 v53, v52                              // 00000001255C: 7E6A1D34
	v_cvt_off_f32_i4_sdwa v54, v52 dst_sel:DWORD dst_unused:UNUSED_PRESERVE src0_sel:BYTE_2// 000000012560: 7E6C1CF9 00021634
	v_cvt_pk_fp8_f32 v56, v53, v54                             // 000000012568: D2A20038 00026D35
	v_cvt_off_f32_i4_sdwa v53, v52 dst_sel:DWORD dst_unused:UNUSED_PRESERVE src0_sel:BYTE_1// 000000012570: 7E6A1CF9 00011634
	v_cvt_off_f32_i4_sdwa v54, v52 dst_sel:DWORD dst_unused:UNUSED_PRESERVE src0_sel:BYTE_3// 000000012578: 7E6C1CF9 00031634
	v_cvt_pk_fp8_f32 v57, v53, v54                             // 000000012580: D2A20039 00026D35
	v_lshrrev_b32_e32 v55, 4, v52                              // 000000012588: 206E6884
	v_cvt_off_f32_i4_e32 v53, v55                              // 00000001258C: 7E6A1D37
	v_cvt_off_f32_i4_sdwa v54, v55 dst_sel:DWORD dst_unused:UNUSED_PRESERVE src0_sel:BYTE_2// 000000012590: 7E6C1CF9 00021637
	v_cvt_pk_fp8_f32 v56, v53, v54 op_sel:[0,0,1]              // 000000012598: D2A24038 00026D35
	v_cvt_off_f32_i4_sdwa v53, v55 dst_sel:DWORD dst_unused:UNUSED_PRESERVE src0_sel:BYTE_1// 0000000125A0: 7E6A1CF9 00011637
	v_cvt_off_f32_i4_sdwa v54, v55 dst_sel:DWORD dst_unused:UNUSED_PRESERVE src0_sel:BYTE_3// 0000000125A8: 7E6C1CF9 00031637
	v_cvt_pk_fp8_f32 v57, v53, v54 op_sel:[0,0,1]              // 0000000125B0: D2A24039 00026D35
	v_accvgpr_write_b32 a226, v56                              // 0000000125B8: D3D940E2 18000138
	v_accvgpr_write_b32 a227, v57                              // 0000000125C0: D3D940E3 18000139
	s_nop 3                                                    // 0000000125C8: BF800003
	v_mfma_f32_16x16x32_fp8_fp8 v[224:227], a[226:227], v[154:155], v[224:227]// 0000000125CC: D3F300E0 0F8335E2
	buffer_load_dwordx4 a[112:115], v42, s[12:15], 0 offen     // 0000000125D4: E05C1000 8083702A
	v_accvgpr_read_b32 v52, a242                               // 0000000125DC: D3D84034 180001F2
	v_cvt_off_f32_i4_e32 v53, v52                              // 0000000125E4: 7E6A1D34
	v_cvt_off_f32_i4_sdwa v54, v52 dst_sel:DWORD dst_unused:UNUSED_PRESERVE src0_sel:BYTE_2// 0000000125E8: 7E6C1CF9 00021634
	v_cvt_pk_fp8_f32 v56, v53, v54                             // 0000000125F0: D2A20038 00026D35
	v_cvt_off_f32_i4_sdwa v53, v52 dst_sel:DWORD dst_unused:UNUSED_PRESERVE src0_sel:BYTE_1// 0000000125F8: 7E6A1CF9 00011634
	v_cvt_off_f32_i4_sdwa v54, v52 dst_sel:DWORD dst_unused:UNUSED_PRESERVE src0_sel:BYTE_3// 000000012600: 7E6C1CF9 00031634
	v_cvt_pk_fp8_f32 v57, v53, v54                             // 000000012608: D2A20039 00026D35
	v_lshrrev_b32_e32 v55, 4, v52                              // 000000012610: 206E6884
	v_cvt_off_f32_i4_e32 v53, v55                              // 000000012614: 7E6A1D37
	v_cvt_off_f32_i4_sdwa v54, v55 dst_sel:DWORD dst_unused:UNUSED_PRESERVE src0_sel:BYTE_2// 000000012618: 7E6C1CF9 00021637
	v_cvt_pk_fp8_f32 v56, v53, v54 op_sel:[0,0,1]              // 000000012620: D2A24038 00026D35
	v_cvt_off_f32_i4_sdwa v53, v55 dst_sel:DWORD dst_unused:UNUSED_PRESERVE src0_sel:BYTE_1// 000000012628: 7E6A1CF9 00011637
	v_cvt_off_f32_i4_sdwa v54, v55 dst_sel:DWORD dst_unused:UNUSED_PRESERVE src0_sel:BYTE_3// 000000012630: 7E6C1CF9 00031637
	v_cvt_pk_fp8_f32 v57, v53, v54 op_sel:[0,0,1]              // 000000012638: D2A24039 00026D35
	v_accvgpr_write_b32 a228, v56                              // 000000012640: D3D940E4 18000138
	v_accvgpr_write_b32 a229, v57                              // 000000012648: D3D940E5 18000139
	s_nop 3                                                    // 000000012650: BF800003
	v_mfma_f32_16x16x32_fp8_fp8 v[224:227], a[228:229], v[156:157], v[224:227]// 000000012654: D3F300E0 0F8339E4
	v_accvgpr_read_b32 v52, a243                               // 00000001265C: D3D84034 180001F3
	v_cvt_off_f32_i4_e32 v53, v52                              // 000000012664: 7E6A1D34
	v_cvt_off_f32_i4_sdwa v54, v52 dst_sel:DWORD dst_unused:UNUSED_PRESERVE src0_sel:BYTE_2// 000000012668: 7E6C1CF9 00021634
	v_cvt_pk_fp8_f32 v56, v53, v54                             // 000000012670: D2A20038 00026D35
	v_cvt_off_f32_i4_sdwa v53, v52 dst_sel:DWORD dst_unused:UNUSED_PRESERVE src0_sel:BYTE_1// 000000012678: 7E6A1CF9 00011634
	v_cvt_off_f32_i4_sdwa v54, v52 dst_sel:DWORD dst_unused:UNUSED_PRESERVE src0_sel:BYTE_3// 000000012680: 7E6C1CF9 00031634
	v_cvt_pk_fp8_f32 v57, v53, v54                             // 000000012688: D2A20039 00026D35
	v_lshrrev_b32_e32 v55, 4, v52                              // 000000012690: 206E6884
	v_cvt_off_f32_i4_e32 v53, v55                              // 000000012694: 7E6A1D37
	v_cvt_off_f32_i4_sdwa v54, v55 dst_sel:DWORD dst_unused:UNUSED_PRESERVE src0_sel:BYTE_2// 000000012698: 7E6C1CF9 00021637
	v_cvt_pk_fp8_f32 v56, v53, v54 op_sel:[0,0,1]              // 0000000126A0: D2A24038 00026D35
	v_cvt_off_f32_i4_sdwa v53, v55 dst_sel:DWORD dst_unused:UNUSED_PRESERVE src0_sel:BYTE_1// 0000000126A8: 7E6A1CF9 00011637
	v_cvt_off_f32_i4_sdwa v54, v55 dst_sel:DWORD dst_unused:UNUSED_PRESERVE src0_sel:BYTE_3// 0000000126B0: 7E6C1CF9 00031637
	v_cvt_pk_fp8_f32 v57, v53, v54 op_sel:[0,0,1]              // 0000000126B8: D2A24039 00026D35
	v_accvgpr_write_b32 a230, v56                              // 0000000126C0: D3D940E6 18000138
	v_accvgpr_write_b32 a231, v57                              // 0000000126C8: D3D940E7 18000139
	s_nop 3                                                    // 0000000126D0: BF800003
	v_mfma_f32_16x16x32_fp8_fp8 v[224:227], a[230:231], v[158:159], v[224:227]// 0000000126D4: D3F300E0 0F833DE6
	v_mfma_f32_16x16x32_fp8_fp8 v[228:231], a[224:225], v[184:185], v[228:231]// 0000000126DC: D3F300E4 0F9371E0
	v_mfma_f32_16x16x32_fp8_fp8 v[228:231], a[226:227], v[186:187], v[228:231]// 0000000126E4: D3F300E4 0F9375E2
	v_mfma_f32_16x16x32_fp8_fp8 v[228:231], a[228:229], v[188:189], v[228:231]// 0000000126EC: D3F300E4 0F9379E4
	v_mfma_f32_16x16x32_fp8_fp8 v[228:231], a[230:231], v[190:191], v[228:231]// 0000000126F4: D3F300E4 0F937DE6
	v_accvgpr_read_b32 v52, a244                               // 0000000126FC: D3D84034 180001F4
	v_cvt_off_f32_i4_e32 v53, v52                              // 000000012704: 7E6A1D34
	v_cvt_off_f32_i4_sdwa v54, v52 dst_sel:DWORD dst_unused:UNUSED_PRESERVE src0_sel:BYTE_2// 000000012708: 7E6C1CF9 00021634
	v_cvt_pk_fp8_f32 v56, v53, v54                             // 000000012710: D2A20038 00026D35
	v_cvt_off_f32_i4_sdwa v53, v52 dst_sel:DWORD dst_unused:UNUSED_PRESERVE src0_sel:BYTE_1// 000000012718: 7E6A1CF9 00011634
	v_cvt_off_f32_i4_sdwa v54, v52 dst_sel:DWORD dst_unused:UNUSED_PRESERVE src0_sel:BYTE_3// 000000012720: 7E6C1CF9 00031634
	v_cvt_pk_fp8_f32 v57, v53, v54                             // 000000012728: D2A20039 00026D35
	v_lshrrev_b32_e32 v55, 4, v52                              // 000000012730: 206E6884
	v_cvt_off_f32_i4_e32 v53, v55                              // 000000012734: 7E6A1D37
	v_cvt_off_f32_i4_sdwa v54, v55 dst_sel:DWORD dst_unused:UNUSED_PRESERVE src0_sel:BYTE_2// 000000012738: 7E6C1CF9 00021637
	v_cvt_pk_fp8_f32 v56, v53, v54 op_sel:[0,0,1]              // 000000012740: D2A24038 00026D35
	v_cvt_off_f32_i4_sdwa v53, v55 dst_sel:DWORD dst_unused:UNUSED_PRESERVE src0_sel:BYTE_1// 000000012748: 7E6A1CF9 00011637
	v_cvt_off_f32_i4_sdwa v54, v55 dst_sel:DWORD dst_unused:UNUSED_PRESERVE src0_sel:BYTE_3// 000000012750: 7E6C1CF9 00031637
	v_cvt_pk_fp8_f32 v57, v53, v54 op_sel:[0,0,1]              // 000000012758: D2A24039 00026D35
	v_accvgpr_write_b32 a232, v56                              // 000000012760: D3D940E8 18000138
	v_accvgpr_write_b32 a233, v57                              // 000000012768: D3D940E9 18000139
	s_nop 3                                                    // 000000012770: BF800003
	v_mfma_f32_16x16x32_fp8_fp8 v[232:235], a[232:233], v[152:153], v[232:235]// 000000012774: D3F300E8 0FA331E8
	v_accvgpr_read_b32 v52, a245                               // 00000001277C: D3D84034 180001F5
	v_cvt_off_f32_i4_e32 v53, v52                              // 000000012784: 7E6A1D34
	v_cvt_off_f32_i4_sdwa v54, v52 dst_sel:DWORD dst_unused:UNUSED_PRESERVE src0_sel:BYTE_2// 000000012788: 7E6C1CF9 00021634
	v_cvt_pk_fp8_f32 v56, v53, v54                             // 000000012790: D2A20038 00026D35
	v_cvt_off_f32_i4_sdwa v53, v52 dst_sel:DWORD dst_unused:UNUSED_PRESERVE src0_sel:BYTE_1// 000000012798: 7E6A1CF9 00011634
	v_cvt_off_f32_i4_sdwa v54, v52 dst_sel:DWORD dst_unused:UNUSED_PRESERVE src0_sel:BYTE_3// 0000000127A0: 7E6C1CF9 00031634
	v_cvt_pk_fp8_f32 v57, v53, v54                             // 0000000127A8: D2A20039 00026D35
	v_lshrrev_b32_e32 v55, 4, v52                              // 0000000127B0: 206E6884
	v_cvt_off_f32_i4_e32 v53, v55                              // 0000000127B4: 7E6A1D37
	v_cvt_off_f32_i4_sdwa v54, v55 dst_sel:DWORD dst_unused:UNUSED_PRESERVE src0_sel:BYTE_2// 0000000127B8: 7E6C1CF9 00021637
	v_cvt_pk_fp8_f32 v56, v53, v54 op_sel:[0,0,1]              // 0000000127C0: D2A24038 00026D35
	v_cvt_off_f32_i4_sdwa v53, v55 dst_sel:DWORD dst_unused:UNUSED_PRESERVE src0_sel:BYTE_1// 0000000127C8: 7E6A1CF9 00011637
	v_cvt_off_f32_i4_sdwa v54, v55 dst_sel:DWORD dst_unused:UNUSED_PRESERVE src0_sel:BYTE_3// 0000000127D0: 7E6C1CF9 00031637
	v_cvt_pk_fp8_f32 v57, v53, v54 op_sel:[0,0,1]              // 0000000127D8: D2A24039 00026D35
	v_accvgpr_write_b32 a234, v56                              // 0000000127E0: D3D940EA 18000138
	v_accvgpr_write_b32 a235, v57                              // 0000000127E8: D3D940EB 18000139
	s_nop 3                                                    // 0000000127F0: BF800003
	v_mfma_f32_16x16x32_fp8_fp8 v[232:235], a[234:235], v[154:155], v[232:235]// 0000000127F4: D3F300E8 0FA335EA
	buffer_load_dwordx4 a[116:119], v43, s[12:15], 0 offen     // 0000000127FC: E05C1000 8083742B
	v_accvgpr_read_b32 v52, a246                               // 000000012804: D3D84034 180001F6
	v_cvt_off_f32_i4_e32 v53, v52                              // 00000001280C: 7E6A1D34
	v_cvt_off_f32_i4_sdwa v54, v52 dst_sel:DWORD dst_unused:UNUSED_PRESERVE src0_sel:BYTE_2// 000000012810: 7E6C1CF9 00021634
	v_cvt_pk_fp8_f32 v56, v53, v54                             // 000000012818: D2A20038 00026D35
	v_cvt_off_f32_i4_sdwa v53, v52 dst_sel:DWORD dst_unused:UNUSED_PRESERVE src0_sel:BYTE_1// 000000012820: 7E6A1CF9 00011634
	v_cvt_off_f32_i4_sdwa v54, v52 dst_sel:DWORD dst_unused:UNUSED_PRESERVE src0_sel:BYTE_3// 000000012828: 7E6C1CF9 00031634
	v_cvt_pk_fp8_f32 v57, v53, v54                             // 000000012830: D2A20039 00026D35
	v_lshrrev_b32_e32 v55, 4, v52                              // 000000012838: 206E6884
	v_cvt_off_f32_i4_e32 v53, v55                              // 00000001283C: 7E6A1D37
	v_cvt_off_f32_i4_sdwa v54, v55 dst_sel:DWORD dst_unused:UNUSED_PRESERVE src0_sel:BYTE_2// 000000012840: 7E6C1CF9 00021637
	v_cvt_pk_fp8_f32 v56, v53, v54 op_sel:[0,0,1]              // 000000012848: D2A24038 00026D35
	v_cvt_off_f32_i4_sdwa v53, v55 dst_sel:DWORD dst_unused:UNUSED_PRESERVE src0_sel:BYTE_1// 000000012850: 7E6A1CF9 00011637
	v_cvt_off_f32_i4_sdwa v54, v55 dst_sel:DWORD dst_unused:UNUSED_PRESERVE src0_sel:BYTE_3// 000000012858: 7E6C1CF9 00031637
	v_cvt_pk_fp8_f32 v57, v53, v54 op_sel:[0,0,1]              // 000000012860: D2A24039 00026D35
	v_accvgpr_write_b32 a236, v56                              // 000000012868: D3D940EC 18000138
	v_accvgpr_write_b32 a237, v57                              // 000000012870: D3D940ED 18000139
	s_nop 3                                                    // 000000012878: BF800003
	v_mfma_f32_16x16x32_fp8_fp8 v[232:235], a[236:237], v[156:157], v[232:235]// 00000001287C: D3F300E8 0FA339EC
	v_accvgpr_read_b32 v52, a247                               // 000000012884: D3D84034 180001F7
	v_cvt_off_f32_i4_e32 v53, v52                              // 00000001288C: 7E6A1D34
	v_cvt_off_f32_i4_sdwa v54, v52 dst_sel:DWORD dst_unused:UNUSED_PRESERVE src0_sel:BYTE_2// 000000012890: 7E6C1CF9 00021634
	v_cvt_pk_fp8_f32 v56, v53, v54                             // 000000012898: D2A20038 00026D35
	v_cvt_off_f32_i4_sdwa v53, v52 dst_sel:DWORD dst_unused:UNUSED_PRESERVE src0_sel:BYTE_1// 0000000128A0: 7E6A1CF9 00011634
	v_cvt_off_f32_i4_sdwa v54, v52 dst_sel:DWORD dst_unused:UNUSED_PRESERVE src0_sel:BYTE_3// 0000000128A8: 7E6C1CF9 00031634
	v_cvt_pk_fp8_f32 v57, v53, v54                             // 0000000128B0: D2A20039 00026D35
	v_lshrrev_b32_e32 v55, 4, v52                              // 0000000128B8: 206E6884
	v_cvt_off_f32_i4_e32 v53, v55                              // 0000000128BC: 7E6A1D37
	v_cvt_off_f32_i4_sdwa v54, v55 dst_sel:DWORD dst_unused:UNUSED_PRESERVE src0_sel:BYTE_2// 0000000128C0: 7E6C1CF9 00021637
	v_cvt_pk_fp8_f32 v56, v53, v54 op_sel:[0,0,1]              // 0000000128C8: D2A24038 00026D35
	v_cvt_off_f32_i4_sdwa v53, v55 dst_sel:DWORD dst_unused:UNUSED_PRESERVE src0_sel:BYTE_1// 0000000128D0: 7E6A1CF9 00011637
	v_cvt_off_f32_i4_sdwa v54, v55 dst_sel:DWORD dst_unused:UNUSED_PRESERVE src0_sel:BYTE_3// 0000000128D8: 7E6C1CF9 00031637
	v_cvt_pk_fp8_f32 v57, v53, v54 op_sel:[0,0,1]              // 0000000128E0: D2A24039 00026D35
	v_accvgpr_write_b32 a238, v56                              // 0000000128E8: D3D940EE 18000138
	v_accvgpr_write_b32 a239, v57                              // 0000000128F0: D3D940EF 18000139
	s_nop 3                                                    // 0000000128F8: BF800003
	v_mfma_f32_16x16x32_fp8_fp8 v[232:235], a[238:239], v[158:159], v[232:235]// 0000000128FC: D3F300E8 0FA33DEE
	v_mfma_f32_16x16x32_fp8_fp8 v[236:239], a[232:233], v[184:185], v[236:239]// 000000012904: D3F300EC 0FB371E8
	v_mfma_f32_16x16x32_fp8_fp8 v[236:239], a[234:235], v[186:187], v[236:239]// 00000001290C: D3F300EC 0FB375EA
	v_mfma_f32_16x16x32_fp8_fp8 v[236:239], a[236:237], v[188:189], v[236:239]// 000000012914: D3F300EC 0FB379EC
	v_mfma_f32_16x16x32_fp8_fp8 v[236:239], a[238:239], v[190:191], v[236:239]// 00000001291C: D3F300EC 0FB37DEE
	v_accvgpr_read_b32 v52, a248                               // 000000012924: D3D84034 180001F8
	v_cvt_off_f32_i4_e32 v53, v52                              // 00000001292C: 7E6A1D34
	v_cvt_off_f32_i4_sdwa v54, v52 dst_sel:DWORD dst_unused:UNUSED_PRESERVE src0_sel:BYTE_2// 000000012930: 7E6C1CF9 00021634
	v_cvt_pk_fp8_f32 v56, v53, v54                             // 000000012938: D2A20038 00026D35
	v_cvt_off_f32_i4_sdwa v53, v52 dst_sel:DWORD dst_unused:UNUSED_PRESERVE src0_sel:BYTE_1// 000000012940: 7E6A1CF9 00011634
	v_cvt_off_f32_i4_sdwa v54, v52 dst_sel:DWORD dst_unused:UNUSED_PRESERVE src0_sel:BYTE_3// 000000012948: 7E6C1CF9 00031634
	v_cvt_pk_fp8_f32 v57, v53, v54                             // 000000012950: D2A20039 00026D35
	v_lshrrev_b32_e32 v55, 4, v52                              // 000000012958: 206E6884
	v_cvt_off_f32_i4_e32 v53, v55                              // 00000001295C: 7E6A1D37
	v_cvt_off_f32_i4_sdwa v54, v55 dst_sel:DWORD dst_unused:UNUSED_PRESERVE src0_sel:BYTE_2// 000000012960: 7E6C1CF9 00021637
	v_cvt_pk_fp8_f32 v56, v53, v54 op_sel:[0,0,1]              // 000000012968: D2A24038 00026D35
	v_cvt_off_f32_i4_sdwa v53, v55 dst_sel:DWORD dst_unused:UNUSED_PRESERVE src0_sel:BYTE_1// 000000012970: 7E6A1CF9 00011637
	v_cvt_off_f32_i4_sdwa v54, v55 dst_sel:DWORD dst_unused:UNUSED_PRESERVE src0_sel:BYTE_3// 000000012978: 7E6C1CF9 00031637
	v_cvt_pk_fp8_f32 v57, v53, v54 op_sel:[0,0,1]              // 000000012980: D2A24039 00026D35
	v_accvgpr_write_b32 a240, v56                              // 000000012988: D3D940F0 18000138
	v_accvgpr_write_b32 a241, v57                              // 000000012990: D3D940F1 18000139
	s_nop 3                                                    // 000000012998: BF800003
	v_mfma_f32_16x16x32_fp8_fp8 v[240:243], a[240:241], v[152:153], v[240:243]// 00000001299C: D3F300F0 0FC331F0
	v_accvgpr_read_b32 v52, a249                               // 0000000129A4: D3D84034 180001F9
	v_cvt_off_f32_i4_e32 v53, v52                              // 0000000129AC: 7E6A1D34
	v_cvt_off_f32_i4_sdwa v54, v52 dst_sel:DWORD dst_unused:UNUSED_PRESERVE src0_sel:BYTE_2// 0000000129B0: 7E6C1CF9 00021634
	v_cvt_pk_fp8_f32 v56, v53, v54                             // 0000000129B8: D2A20038 00026D35
	v_cvt_off_f32_i4_sdwa v53, v52 dst_sel:DWORD dst_unused:UNUSED_PRESERVE src0_sel:BYTE_1// 0000000129C0: 7E6A1CF9 00011634
	v_cvt_off_f32_i4_sdwa v54, v52 dst_sel:DWORD dst_unused:UNUSED_PRESERVE src0_sel:BYTE_3// 0000000129C8: 7E6C1CF9 00031634
	v_cvt_pk_fp8_f32 v57, v53, v54                             // 0000000129D0: D2A20039 00026D35
	v_lshrrev_b32_e32 v55, 4, v52                              // 0000000129D8: 206E6884
	v_cvt_off_f32_i4_e32 v53, v55                              // 0000000129DC: 7E6A1D37
	v_cvt_off_f32_i4_sdwa v54, v55 dst_sel:DWORD dst_unused:UNUSED_PRESERVE src0_sel:BYTE_2// 0000000129E0: 7E6C1CF9 00021637
	v_cvt_pk_fp8_f32 v56, v53, v54 op_sel:[0,0,1]              // 0000000129E8: D2A24038 00026D35
	v_cvt_off_f32_i4_sdwa v53, v55 dst_sel:DWORD dst_unused:UNUSED_PRESERVE src0_sel:BYTE_1// 0000000129F0: 7E6A1CF9 00011637
	v_cvt_off_f32_i4_sdwa v54, v55 dst_sel:DWORD dst_unused:UNUSED_PRESERVE src0_sel:BYTE_3// 0000000129F8: 7E6C1CF9 00031637
	v_cvt_pk_fp8_f32 v57, v53, v54 op_sel:[0,0,1]              // 000000012A00: D2A24039 00026D35
	v_accvgpr_write_b32 a242, v56                              // 000000012A08: D3D940F2 18000138
	v_accvgpr_write_b32 a243, v57                              // 000000012A10: D3D940F3 18000139
	s_nop 3                                                    // 000000012A18: BF800003
	v_mfma_f32_16x16x32_fp8_fp8 v[240:243], a[242:243], v[154:155], v[240:243]// 000000012A1C: D3F300F0 0FC335F2
	buffer_load_dwordx4 a[120:123], v44, s[12:15], 0 offen     // 000000012A24: E05C1000 8083782C
	v_accvgpr_read_b32 v52, a250                               // 000000012A2C: D3D84034 180001FA
	v_cvt_off_f32_i4_e32 v53, v52                              // 000000012A34: 7E6A1D34
	v_cvt_off_f32_i4_sdwa v54, v52 dst_sel:DWORD dst_unused:UNUSED_PRESERVE src0_sel:BYTE_2// 000000012A38: 7E6C1CF9 00021634
	v_cvt_pk_fp8_f32 v56, v53, v54                             // 000000012A40: D2A20038 00026D35
	v_cvt_off_f32_i4_sdwa v53, v52 dst_sel:DWORD dst_unused:UNUSED_PRESERVE src0_sel:BYTE_1// 000000012A48: 7E6A1CF9 00011634
	v_cvt_off_f32_i4_sdwa v54, v52 dst_sel:DWORD dst_unused:UNUSED_PRESERVE src0_sel:BYTE_3// 000000012A50: 7E6C1CF9 00031634
	v_cvt_pk_fp8_f32 v57, v53, v54                             // 000000012A58: D2A20039 00026D35
	v_lshrrev_b32_e32 v55, 4, v52                              // 000000012A60: 206E6884
	v_cvt_off_f32_i4_e32 v53, v55                              // 000000012A64: 7E6A1D37
	v_cvt_off_f32_i4_sdwa v54, v55 dst_sel:DWORD dst_unused:UNUSED_PRESERVE src0_sel:BYTE_2// 000000012A68: 7E6C1CF9 00021637
	v_cvt_pk_fp8_f32 v56, v53, v54 op_sel:[0,0,1]              // 000000012A70: D2A24038 00026D35
	v_cvt_off_f32_i4_sdwa v53, v55 dst_sel:DWORD dst_unused:UNUSED_PRESERVE src0_sel:BYTE_1// 000000012A78: 7E6A1CF9 00011637
	v_cvt_off_f32_i4_sdwa v54, v55 dst_sel:DWORD dst_unused:UNUSED_PRESERVE src0_sel:BYTE_3// 000000012A80: 7E6C1CF9 00031637
	v_cvt_pk_fp8_f32 v57, v53, v54 op_sel:[0,0,1]              // 000000012A88: D2A24039 00026D35
	v_accvgpr_write_b32 a244, v56                              // 000000012A90: D3D940F4 18000138
	v_accvgpr_write_b32 a245, v57                              // 000000012A98: D3D940F5 18000139
	s_nop 3                                                    // 000000012AA0: BF800003
	v_mfma_f32_16x16x32_fp8_fp8 v[240:243], a[244:245], v[156:157], v[240:243]// 000000012AA4: D3F300F0 0FC339F4
	v_accvgpr_read_b32 v52, a251                               // 000000012AAC: D3D84034 180001FB
	v_cvt_off_f32_i4_e32 v53, v52                              // 000000012AB4: 7E6A1D34
	v_cvt_off_f32_i4_sdwa v54, v52 dst_sel:DWORD dst_unused:UNUSED_PRESERVE src0_sel:BYTE_2// 000000012AB8: 7E6C1CF9 00021634
	v_cvt_pk_fp8_f32 v56, v53, v54                             // 000000012AC0: D2A20038 00026D35
	v_cvt_off_f32_i4_sdwa v53, v52 dst_sel:DWORD dst_unused:UNUSED_PRESERVE src0_sel:BYTE_1// 000000012AC8: 7E6A1CF9 00011634
	v_cvt_off_f32_i4_sdwa v54, v52 dst_sel:DWORD dst_unused:UNUSED_PRESERVE src0_sel:BYTE_3// 000000012AD0: 7E6C1CF9 00031634
	v_cvt_pk_fp8_f32 v57, v53, v54                             // 000000012AD8: D2A20039 00026D35
	v_lshrrev_b32_e32 v55, 4, v52                              // 000000012AE0: 206E6884
	v_cvt_off_f32_i4_e32 v53, v55                              // 000000012AE4: 7E6A1D37
	v_cvt_off_f32_i4_sdwa v54, v55 dst_sel:DWORD dst_unused:UNUSED_PRESERVE src0_sel:BYTE_2// 000000012AE8: 7E6C1CF9 00021637
	v_cvt_pk_fp8_f32 v56, v53, v54 op_sel:[0,0,1]              // 000000012AF0: D2A24038 00026D35
	v_cvt_off_f32_i4_sdwa v53, v55 dst_sel:DWORD dst_unused:UNUSED_PRESERVE src0_sel:BYTE_1// 000000012AF8: 7E6A1CF9 00011637
	v_cvt_off_f32_i4_sdwa v54, v55 dst_sel:DWORD dst_unused:UNUSED_PRESERVE src0_sel:BYTE_3// 000000012B00: 7E6C1CF9 00031637
	v_cvt_pk_fp8_f32 v57, v53, v54 op_sel:[0,0,1]              // 000000012B08: D2A24039 00026D35
	v_accvgpr_write_b32 a246, v56                              // 000000012B10: D3D940F6 18000138
	v_accvgpr_write_b32 a247, v57                              // 000000012B18: D3D940F7 18000139
	s_nop 3                                                    // 000000012B20: BF800003
	v_mfma_f32_16x16x32_fp8_fp8 v[240:243], a[246:247], v[158:159], v[240:243]// 000000012B24: D3F300F0 0FC33DF6
	v_mfma_f32_16x16x32_fp8_fp8 v[244:247], a[240:241], v[184:185], v[244:247]// 000000012B2C: D3F300F4 0FD371F0
	v_mfma_f32_16x16x32_fp8_fp8 v[244:247], a[242:243], v[186:187], v[244:247]// 000000012B34: D3F300F4 0FD375F2
	v_mfma_f32_16x16x32_fp8_fp8 v[244:247], a[244:245], v[188:189], v[244:247]// 000000012B3C: D3F300F4 0FD379F4
	v_mfma_f32_16x16x32_fp8_fp8 v[244:247], a[246:247], v[190:191], v[244:247]// 000000012B44: D3F300F4 0FD37DF6
	v_accvgpr_read_b32 v52, a252                               // 000000012B4C: D3D84034 180001FC
	v_cvt_off_f32_i4_e32 v53, v52                              // 000000012B54: 7E6A1D34
	v_cvt_off_f32_i4_sdwa v54, v52 dst_sel:DWORD dst_unused:UNUSED_PRESERVE src0_sel:BYTE_2// 000000012B58: 7E6C1CF9 00021634
	v_cvt_pk_fp8_f32 v56, v53, v54                             // 000000012B60: D2A20038 00026D35
	v_cvt_off_f32_i4_sdwa v53, v52 dst_sel:DWORD dst_unused:UNUSED_PRESERVE src0_sel:BYTE_1// 000000012B68: 7E6A1CF9 00011634
	v_cvt_off_f32_i4_sdwa v54, v52 dst_sel:DWORD dst_unused:UNUSED_PRESERVE src0_sel:BYTE_3// 000000012B70: 7E6C1CF9 00031634
	v_cvt_pk_fp8_f32 v57, v53, v54                             // 000000012B78: D2A20039 00026D35
	v_lshrrev_b32_e32 v55, 4, v52                              // 000000012B80: 206E6884
	v_cvt_off_f32_i4_e32 v53, v55                              // 000000012B84: 7E6A1D37
	v_cvt_off_f32_i4_sdwa v54, v55 dst_sel:DWORD dst_unused:UNUSED_PRESERVE src0_sel:BYTE_2// 000000012B88: 7E6C1CF9 00021637
	v_cvt_pk_fp8_f32 v56, v53, v54 op_sel:[0,0,1]              // 000000012B90: D2A24038 00026D35
	v_cvt_off_f32_i4_sdwa v53, v55 dst_sel:DWORD dst_unused:UNUSED_PRESERVE src0_sel:BYTE_1// 000000012B98: 7E6A1CF9 00011637
	v_cvt_off_f32_i4_sdwa v54, v55 dst_sel:DWORD dst_unused:UNUSED_PRESERVE src0_sel:BYTE_3// 000000012BA0: 7E6C1CF9 00031637
	v_cvt_pk_fp8_f32 v57, v53, v54 op_sel:[0,0,1]              // 000000012BA8: D2A24039 00026D35
	v_accvgpr_write_b32 a248, v56                              // 000000012BB0: D3D940F8 18000138
	v_accvgpr_write_b32 a249, v57                              // 000000012BB8: D3D940F9 18000139
	s_nop 3                                                    // 000000012BC0: BF800003
	v_mfma_f32_16x16x32_fp8_fp8 v[248:251], a[248:249], v[152:153], v[248:251]// 000000012BC4: D3F300F8 0FE331F8
	v_accvgpr_read_b32 v52, a253                               // 000000012BCC: D3D84034 180001FD
	v_cvt_off_f32_i4_e32 v53, v52                              // 000000012BD4: 7E6A1D34
	v_cvt_off_f32_i4_sdwa v54, v52 dst_sel:DWORD dst_unused:UNUSED_PRESERVE src0_sel:BYTE_2// 000000012BD8: 7E6C1CF9 00021634
	v_cvt_pk_fp8_f32 v56, v53, v54                             // 000000012BE0: D2A20038 00026D35
	v_cvt_off_f32_i4_sdwa v53, v52 dst_sel:DWORD dst_unused:UNUSED_PRESERVE src0_sel:BYTE_1// 000000012BE8: 7E6A1CF9 00011634
	v_cvt_off_f32_i4_sdwa v54, v52 dst_sel:DWORD dst_unused:UNUSED_PRESERVE src0_sel:BYTE_3// 000000012BF0: 7E6C1CF9 00031634
	v_cvt_pk_fp8_f32 v57, v53, v54                             // 000000012BF8: D2A20039 00026D35
	v_lshrrev_b32_e32 v55, 4, v52                              // 000000012C00: 206E6884
	v_cvt_off_f32_i4_e32 v53, v55                              // 000000012C04: 7E6A1D37
	v_cvt_off_f32_i4_sdwa v54, v55 dst_sel:DWORD dst_unused:UNUSED_PRESERVE src0_sel:BYTE_2// 000000012C08: 7E6C1CF9 00021637
	v_cvt_pk_fp8_f32 v56, v53, v54 op_sel:[0,0,1]              // 000000012C10: D2A24038 00026D35
	v_cvt_off_f32_i4_sdwa v53, v55 dst_sel:DWORD dst_unused:UNUSED_PRESERVE src0_sel:BYTE_1// 000000012C18: 7E6A1CF9 00011637
	v_cvt_off_f32_i4_sdwa v54, v55 dst_sel:DWORD dst_unused:UNUSED_PRESERVE src0_sel:BYTE_3// 000000012C20: 7E6C1CF9 00031637
	v_cvt_pk_fp8_f32 v57, v53, v54 op_sel:[0,0,1]              // 000000012C28: D2A24039 00026D35
	v_accvgpr_write_b32 a250, v56                              // 000000012C30: D3D940FA 18000138
	v_accvgpr_write_b32 a251, v57                              // 000000012C38: D3D940FB 18000139
	s_nop 3                                                    // 000000012C40: BF800003
	v_mfma_f32_16x16x32_fp8_fp8 v[248:251], a[250:251], v[154:155], v[248:251]// 000000012C44: D3F300F8 0FE335FA
	buffer_load_dwordx4 a[124:127], v45, s[12:15], 0 offen     // 000000012C4C: E05C1000 80837C2D
	v_accvgpr_read_b32 v52, a254                               // 000000012C54: D3D84034 180001FE
	v_cvt_off_f32_i4_e32 v53, v52                              // 000000012C5C: 7E6A1D34
	v_cvt_off_f32_i4_sdwa v54, v52 dst_sel:DWORD dst_unused:UNUSED_PRESERVE src0_sel:BYTE_2// 000000012C60: 7E6C1CF9 00021634
	v_cvt_pk_fp8_f32 v56, v53, v54                             // 000000012C68: D2A20038 00026D35
	v_cvt_off_f32_i4_sdwa v53, v52 dst_sel:DWORD dst_unused:UNUSED_PRESERVE src0_sel:BYTE_1// 000000012C70: 7E6A1CF9 00011634
	v_cvt_off_f32_i4_sdwa v54, v52 dst_sel:DWORD dst_unused:UNUSED_PRESERVE src0_sel:BYTE_3// 000000012C78: 7E6C1CF9 00031634
	v_cvt_pk_fp8_f32 v57, v53, v54                             // 000000012C80: D2A20039 00026D35
	v_lshrrev_b32_e32 v55, 4, v52                              // 000000012C88: 206E6884
	v_cvt_off_f32_i4_e32 v53, v55                              // 000000012C8C: 7E6A1D37
	v_cvt_off_f32_i4_sdwa v54, v55 dst_sel:DWORD dst_unused:UNUSED_PRESERVE src0_sel:BYTE_2// 000000012C90: 7E6C1CF9 00021637
	v_cvt_pk_fp8_f32 v56, v53, v54 op_sel:[0,0,1]              // 000000012C98: D2A24038 00026D35
	v_cvt_off_f32_i4_sdwa v53, v55 dst_sel:DWORD dst_unused:UNUSED_PRESERVE src0_sel:BYTE_1// 000000012CA0: 7E6A1CF9 00011637
	v_cvt_off_f32_i4_sdwa v54, v55 dst_sel:DWORD dst_unused:UNUSED_PRESERVE src0_sel:BYTE_3// 000000012CA8: 7E6C1CF9 00031637
	v_cvt_pk_fp8_f32 v57, v53, v54 op_sel:[0,0,1]              // 000000012CB0: D2A24039 00026D35
	v_accvgpr_write_b32 a252, v56                              // 000000012CB8: D3D940FC 18000138
	v_accvgpr_write_b32 a253, v57                              // 000000012CC0: D3D940FD 18000139
	s_nop 3                                                    // 000000012CC8: BF800003
	v_mfma_f32_16x16x32_fp8_fp8 v[248:251], a[252:253], v[156:157], v[248:251]// 000000012CCC: D3F300F8 0FE339FC
	v_accvgpr_read_b32 v52, a255                               // 000000012CD4: D3D84034 180001FF
	v_cvt_off_f32_i4_e32 v53, v52                              // 000000012CDC: 7E6A1D34
	v_cvt_off_f32_i4_sdwa v54, v52 dst_sel:DWORD dst_unused:UNUSED_PRESERVE src0_sel:BYTE_2// 000000012CE0: 7E6C1CF9 00021634
	v_cvt_pk_fp8_f32 v56, v53, v54                             // 000000012CE8: D2A20038 00026D35
	v_cvt_off_f32_i4_sdwa v53, v52 dst_sel:DWORD dst_unused:UNUSED_PRESERVE src0_sel:BYTE_1// 000000012CF0: 7E6A1CF9 00011634
	v_cvt_off_f32_i4_sdwa v54, v52 dst_sel:DWORD dst_unused:UNUSED_PRESERVE src0_sel:BYTE_3// 000000012CF8: 7E6C1CF9 00031634
	v_cvt_pk_fp8_f32 v57, v53, v54                             // 000000012D00: D2A20039 00026D35
	v_lshrrev_b32_e32 v55, 4, v52                              // 000000012D08: 206E6884
	v_cvt_off_f32_i4_e32 v53, v55                              // 000000012D0C: 7E6A1D37
	v_cvt_off_f32_i4_sdwa v54, v55 dst_sel:DWORD dst_unused:UNUSED_PRESERVE src0_sel:BYTE_2// 000000012D10: 7E6C1CF9 00021637
	v_cvt_pk_fp8_f32 v56, v53, v54 op_sel:[0,0,1]              // 000000012D18: D2A24038 00026D35
	v_cvt_off_f32_i4_sdwa v53, v55 dst_sel:DWORD dst_unused:UNUSED_PRESERVE src0_sel:BYTE_1// 000000012D20: 7E6A1CF9 00011637
	v_cvt_off_f32_i4_sdwa v54, v55 dst_sel:DWORD dst_unused:UNUSED_PRESERVE src0_sel:BYTE_3// 000000012D28: 7E6C1CF9 00031637
	v_cvt_pk_fp8_f32 v57, v53, v54 op_sel:[0,0,1]              // 000000012D30: D2A24039 00026D35
	v_accvgpr_write_b32 a254, v56                              // 000000012D38: D3D940FE 18000138
	v_accvgpr_write_b32 a255, v57                              // 000000012D40: D3D940FF 18000139
	s_nop 3                                                    // 000000012D48: BF800003
	v_mfma_f32_16x16x32_fp8_fp8 v[248:251], a[254:255], v[158:159], v[248:251]// 000000012D4C: D3F300F8 0FE33DFE
	v_mfma_f32_16x16x32_fp8_fp8 v[252:255], a[248:249], v[184:185], v[252:255]// 000000012D54: D3F300FC 0FF371F8
	v_mfma_f32_16x16x32_fp8_fp8 v[252:255], a[250:251], v[186:187], v[252:255]// 000000012D5C: D3F300FC 0FF375FA
	v_mfma_f32_16x16x32_fp8_fp8 v[252:255], a[252:253], v[188:189], v[252:255]// 000000012D64: D3F300FC 0FF379FC
	v_mfma_f32_16x16x32_fp8_fp8 v[252:255], a[254:255], v[190:191], v[252:255]// 000000012D6C: D3F300FC 0FF37DFE
	s_add_u32 s60, 0x200, s80                                  // 000000012D74: 803C50FF 00000200
	s_cmp_lt_u32 s60, s81                                      // 000000012D7C: BF0A513C
	s_cselect_b32 s56, s56, 0                                  // 000000012D80: 85388038
	s_cselect_b32 s78, s78, 0                                  // 000000012D84: 854E804E
	s_cselect_b32 s79, s79, 0                                  // 000000012D88: 854F804F
	s_add_u32 s12, s56, s12                                    // 000000012D8C: 800C0C38
	s_addc_u32 s13, 0, s13                                     // 000000012D90: 820D0D80
	s_add_u32 s16, s79, s16                                    // 000000012D94: 8010104F
	s_addc_u32 s17, 0, s17                                     // 000000012D98: 82111180
	v_mul_f32_e32 v224, v24, v224                              // 000000012D9C: 0BC1C118
	v_mul_f32_e32 v224, 0x41800000, v224                       // 000000012DA0: 0BC1C0FF 41800000
	v_mul_f32_e32 v225, v24, v225                              // 000000012DA8: 0BC3C318
	v_mul_f32_e32 v225, 0x41800000, v225                       // 000000012DAC: 0BC3C2FF 41800000
	v_mul_f32_e32 v226, v24, v226                              // 000000012DB4: 0BC5C518
	v_mul_f32_e32 v226, 0x41800000, v226                       // 000000012DB8: 0BC5C4FF 41800000
	v_mul_f32_e32 v227, v24, v227                              // 000000012DC0: 0BC7C718
	v_mul_f32_e32 v227, 0x41800000, v227                       // 000000012DC4: 0BC7C6FF 41800000
	v_mul_f32_dpp v224, v13, v224 row_newbcast:0 row_mask:0xf bank_mask:0xf// 000000012DCC: 0BC1C0FA FF01500D
	v_mul_f32_dpp v225, v13, v225 row_newbcast:1 row_mask:0xf bank_mask:0xf// 000000012DD4: 0BC3C2FA FF01510D
	v_mul_f32_dpp v226, v13, v226 row_newbcast:2 row_mask:0xf bank_mask:0xf// 000000012DDC: 0BC5C4FA FF01520D
	v_mul_f32_dpp v227, v13, v227 row_newbcast:3 row_mask:0xf bank_mask:0xf// 000000012DE4: 0BC7C6FA FF01530D
	v_mul_f32_e32 v224, v20, v224                              // 000000012DEC: 0BC1C114
	v_mul_f32_e32 v225, v20, v225                              // 000000012DF0: 0BC3C314
	v_mul_f32_e32 v226, v20, v226                              // 000000012DF4: 0BC5C514
	v_mul_f32_e32 v227, v20, v227                              // 000000012DF8: 0BC7C714
	v_mul_f32_e32 v228, v25, v228                              // 000000012DFC: 0BC9C919
	v_mul_f32_e32 v228, 0x41800000, v228                       // 000000012E00: 0BC9C8FF 41800000
	v_mul_f32_e32 v229, v25, v229                              // 000000012E08: 0BCBCB19
	v_mul_f32_e32 v229, 0x41800000, v229                       // 000000012E0C: 0BCBCAFF 41800000
	v_mul_f32_e32 v230, v25, v230                              // 000000012E14: 0BCDCD19
	v_mul_f32_e32 v230, 0x41800000, v230                       // 000000012E18: 0BCDCCFF 41800000
	v_mul_f32_e32 v231, v25, v231                              // 000000012E20: 0BCFCF19
	v_mul_f32_e32 v231, 0x41800000, v231                       // 000000012E24: 0BCFCEFF 41800000
	v_mul_f32_dpp v228, v13, v228 row_newbcast:0 row_mask:0xf bank_mask:0xf// 000000012E2C: 0BC9C8FA FF01500D
	v_mul_f32_dpp v229, v13, v229 row_newbcast:1 row_mask:0xf bank_mask:0xf// 000000012E34: 0BCBCAFA FF01510D
	v_mul_f32_dpp v230, v13, v230 row_newbcast:2 row_mask:0xf bank_mask:0xf// 000000012E3C: 0BCDCCFA FF01520D
	v_mul_f32_dpp v231, v13, v231 row_newbcast:3 row_mask:0xf bank_mask:0xf// 000000012E44: 0BCFCEFA FF01530D
	v_mul_f32_e32 v228, v21, v228                              // 000000012E4C: 0BC9C915
	v_mul_f32_e32 v229, v21, v229                              // 000000012E50: 0BCBCB15
	v_mul_f32_e32 v230, v21, v230                              // 000000012E54: 0BCDCD15
	v_mul_f32_e32 v231, v21, v231                              // 000000012E58: 0BCFCF15
	v_mul_f32_e32 v232, v24, v232                              // 000000012E5C: 0BD1D118
	v_mul_f32_e32 v232, 0x41800000, v232                       // 000000012E60: 0BD1D0FF 41800000
	v_mul_f32_e32 v233, v24, v233                              // 000000012E68: 0BD3D318
	v_mul_f32_e32 v233, 0x41800000, v233                       // 000000012E6C: 0BD3D2FF 41800000
	v_mul_f32_e32 v234, v24, v234                              // 000000012E74: 0BD5D518
	v_mul_f32_e32 v234, 0x41800000, v234                       // 000000012E78: 0BD5D4FF 41800000
	v_mul_f32_e32 v235, v24, v235                              // 000000012E80: 0BD7D718
	v_mul_f32_e32 v235, 0x41800000, v235                       // 000000012E84: 0BD7D6FF 41800000
	v_mul_f32_dpp v232, v13, v232 row_newbcast:4 row_mask:0xf bank_mask:0xf// 000000012E8C: 0BD1D0FA FF01540D
	v_mul_f32_dpp v233, v13, v233 row_newbcast:5 row_mask:0xf bank_mask:0xf// 000000012E94: 0BD3D2FA FF01550D
	v_mul_f32_dpp v234, v13, v234 row_newbcast:6 row_mask:0xf bank_mask:0xf// 000000012E9C: 0BD5D4FA FF01560D
	v_mul_f32_dpp v235, v13, v235 row_newbcast:7 row_mask:0xf bank_mask:0xf// 000000012EA4: 0BD7D6FA FF01570D
	v_mul_f32_e32 v232, v20, v232                              // 000000012EAC: 0BD1D114
	v_mul_f32_e32 v233, v20, v233                              // 000000012EB0: 0BD3D314
	v_mul_f32_e32 v234, v20, v234                              // 000000012EB4: 0BD5D514
	v_mul_f32_e32 v235, v20, v235                              // 000000012EB8: 0BD7D714
	v_mul_f32_e32 v236, v25, v236                              // 000000012EBC: 0BD9D919
	v_mul_f32_e32 v236, 0x41800000, v236                       // 000000012EC0: 0BD9D8FF 41800000
	v_mul_f32_e32 v237, v25, v237                              // 000000012EC8: 0BDBDB19
	v_mul_f32_e32 v237, 0x41800000, v237                       // 000000012ECC: 0BDBDAFF 41800000
	v_mul_f32_e32 v238, v25, v238                              // 000000012ED4: 0BDDDD19
	v_mul_f32_e32 v238, 0x41800000, v238                       // 000000012ED8: 0BDDDCFF 41800000
	v_mul_f32_e32 v239, v25, v239                              // 000000012EE0: 0BDFDF19
	v_mul_f32_e32 v239, 0x41800000, v239                       // 000000012EE4: 0BDFDEFF 41800000
	v_mul_f32_dpp v236, v13, v236 row_newbcast:4 row_mask:0xf bank_mask:0xf// 000000012EEC: 0BD9D8FA FF01540D
	v_mul_f32_dpp v237, v13, v237 row_newbcast:5 row_mask:0xf bank_mask:0xf// 000000012EF4: 0BDBDAFA FF01550D
	v_mul_f32_dpp v238, v13, v238 row_newbcast:6 row_mask:0xf bank_mask:0xf// 000000012EFC: 0BDDDCFA FF01560D
	v_mul_f32_dpp v239, v13, v239 row_newbcast:7 row_mask:0xf bank_mask:0xf// 000000012F04: 0BDFDEFA FF01570D
	v_mul_f32_e32 v236, v21, v236                              // 000000012F0C: 0BD9D915
	v_mul_f32_e32 v237, v21, v237                              // 000000012F10: 0BDBDB15
	v_mul_f32_e32 v238, v21, v238                              // 000000012F14: 0BDDDD15
	v_mul_f32_e32 v239, v21, v239                              // 000000012F18: 0BDFDF15
	v_mul_f32_e32 v240, v24, v240                              // 000000012F1C: 0BE1E118
	v_mul_f32_e32 v240, 0x41800000, v240                       // 000000012F20: 0BE1E0FF 41800000
	v_mul_f32_e32 v241, v24, v241                              // 000000012F28: 0BE3E318
	v_mul_f32_e32 v241, 0x41800000, v241                       // 000000012F2C: 0BE3E2FF 41800000
	v_mul_f32_e32 v242, v24, v242                              // 000000012F34: 0BE5E518
	v_mul_f32_e32 v242, 0x41800000, v242                       // 000000012F38: 0BE5E4FF 41800000
	v_mul_f32_e32 v243, v24, v243                              // 000000012F40: 0BE7E718
	v_mul_f32_e32 v243, 0x41800000, v243                       // 000000012F44: 0BE7E6FF 41800000
	v_mul_f32_dpp v240, v13, v240 row_newbcast:8 row_mask:0xf bank_mask:0xf// 000000012F4C: 0BE1E0FA FF01580D
	v_mul_f32_dpp v241, v13, v241 row_newbcast:9 row_mask:0xf bank_mask:0xf// 000000012F54: 0BE3E2FA FF01590D
	v_mul_f32_dpp v242, v13, v242 row_newbcast:10 row_mask:0xf bank_mask:0xf// 000000012F5C: 0BE5E4FA FF015A0D
	v_mul_f32_dpp v243, v13, v243 row_newbcast:11 row_mask:0xf bank_mask:0xf// 000000012F64: 0BE7E6FA FF015B0D
	v_mul_f32_e32 v240, v20, v240                              // 000000012F6C: 0BE1E114
	v_mul_f32_e32 v241, v20, v241                              // 000000012F70: 0BE3E314
	v_mul_f32_e32 v242, v20, v242                              // 000000012F74: 0BE5E514
	v_mul_f32_e32 v243, v20, v243                              // 000000012F78: 0BE7E714
	v_mul_f32_e32 v244, v25, v244                              // 000000012F7C: 0BE9E919
	v_mul_f32_e32 v244, 0x41800000, v244                       // 000000012F80: 0BE9E8FF 41800000
	v_mul_f32_e32 v245, v25, v245                              // 000000012F88: 0BEBEB19
	v_mul_f32_e32 v245, 0x41800000, v245                       // 000000012F8C: 0BEBEAFF 41800000
	v_mul_f32_e32 v246, v25, v246                              // 000000012F94: 0BEDED19
	v_mul_f32_e32 v246, 0x41800000, v246                       // 000000012F98: 0BEDECFF 41800000
	v_mul_f32_e32 v247, v25, v247                              // 000000012FA0: 0BEFEF19
	v_mul_f32_e32 v247, 0x41800000, v247                       // 000000012FA4: 0BEFEEFF 41800000
	v_mul_f32_dpp v244, v13, v244 row_newbcast:8 row_mask:0xf bank_mask:0xf// 000000012FAC: 0BE9E8FA FF01580D
	v_mul_f32_dpp v245, v13, v245 row_newbcast:9 row_mask:0xf bank_mask:0xf// 000000012FB4: 0BEBEAFA FF01590D
	v_mul_f32_dpp v246, v13, v246 row_newbcast:10 row_mask:0xf bank_mask:0xf// 000000012FBC: 0BEDECFA FF015A0D
	v_mul_f32_dpp v247, v13, v247 row_newbcast:11 row_mask:0xf bank_mask:0xf// 000000012FC4: 0BEFEEFA FF015B0D
	v_mul_f32_e32 v244, v21, v244                              // 000000012FCC: 0BE9E915
	v_mul_f32_e32 v245, v21, v245                              // 000000012FD0: 0BEBEB15
	v_mul_f32_e32 v246, v21, v246                              // 000000012FD4: 0BEDED15
	v_mul_f32_e32 v247, v21, v247                              // 000000012FD8: 0BEFEF15
	v_mul_f32_e32 v248, v24, v248                              // 000000012FDC: 0BF1F118
	v_mul_f32_e32 v248, 0x41800000, v248                       // 000000012FE0: 0BF1F0FF 41800000
	v_mul_f32_e32 v249, v24, v249                              // 000000012FE8: 0BF3F318
	v_mul_f32_e32 v249, 0x41800000, v249                       // 000000012FEC: 0BF3F2FF 41800000
	v_mul_f32_e32 v250, v24, v250                              // 000000012FF4: 0BF5F518
	v_mul_f32_e32 v250, 0x41800000, v250                       // 000000012FF8: 0BF5F4FF 41800000
	v_mul_f32_e32 v251, v24, v251                              // 000000013000: 0BF7F718
	v_mul_f32_e32 v251, 0x41800000, v251                       // 000000013004: 0BF7F6FF 41800000
	v_mul_f32_dpp v248, v13, v248 row_newbcast:12 row_mask:0xf bank_mask:0xf// 00000001300C: 0BF1F0FA FF015C0D
	v_mul_f32_dpp v249, v13, v249 row_newbcast:13 row_mask:0xf bank_mask:0xf// 000000013014: 0BF3F2FA FF015D0D
	v_mul_f32_dpp v250, v13, v250 row_newbcast:14 row_mask:0xf bank_mask:0xf// 00000001301C: 0BF5F4FA FF015E0D
	v_mul_f32_dpp v251, v13, v251 row_newbcast:15 row_mask:0xf bank_mask:0xf// 000000013024: 0BF7F6FA FF015F0D
	v_mul_f32_e32 v248, v20, v248                              // 00000001302C: 0BF1F114
	v_mul_f32_e32 v249, v20, v249                              // 000000013030: 0BF3F314
	v_mul_f32_e32 v250, v20, v250                              // 000000013034: 0BF5F514
	v_mul_f32_e32 v251, v20, v251                              // 000000013038: 0BF7F714
	v_mul_f32_e32 v252, v25, v252                              // 00000001303C: 0BF9F919
	v_mul_f32_e32 v252, 0x41800000, v252                       // 000000013040: 0BF9F8FF 41800000
	v_mul_f32_e32 v253, v25, v253                              // 000000013048: 0BFBFB19
	v_mul_f32_e32 v253, 0x41800000, v253                       // 00000001304C: 0BFBFAFF 41800000
	v_mul_f32_e32 v254, v25, v254                              // 000000013054: 0BFDFD19
	v_mul_f32_e32 v254, 0x41800000, v254                       // 000000013058: 0BFDFCFF 41800000
	v_mul_f32_e32 v255, v25, v255                              // 000000013060: 0BFFFF19
	v_mul_f32_e32 v255, 0x41800000, v255                       // 000000013064: 0BFFFEFF 41800000
	v_mul_f32_dpp v252, v13, v252 row_newbcast:12 row_mask:0xf bank_mask:0xf// 00000001306C: 0BF9F8FA FF015C0D
	v_mul_f32_dpp v253, v13, v253 row_newbcast:13 row_mask:0xf bank_mask:0xf// 000000013074: 0BFBFAFA FF015D0D
	v_mul_f32_dpp v254, v13, v254 row_newbcast:14 row_mask:0xf bank_mask:0xf// 00000001307C: 0BFDFCFA FF015E0D
	v_mul_f32_dpp v255, v13, v255 row_newbcast:15 row_mask:0xf bank_mask:0xf// 000000013084: 0BFFFEFA FF015F0D
	v_mul_f32_e32 v252, v21, v252                              // 00000001308C: 0BF9F915
	v_mul_f32_e32 v253, v21, v253                              // 000000013090: 0BFBFB15
	v_mul_f32_e32 v254, v21, v254                              // 000000013094: 0BFDFD15
	v_mul_f32_e32 v255, v21, v255                              // 000000013098: 0BFFFF15
	v_cmp_u_f32_e64 s[48:49], v224, v224                       // 00000001309C: D0480030 0003C1E0
	v_add3_u32 v46, v224, v49, 1                               // 0000000130A4: D1FF002E 020663E0
	v_cndmask_b32_e64 v52, v46, v48, s[48:49]                  // 0000000130AC: D1000034 00C2612E
	v_cmp_u_f32_e64 s[48:49], v225, v225                       // 0000000130B4: D0480030 0003C3E1
	v_add3_u32 v46, v225, v49, 1                               // 0000000130BC: D1FF002E 020663E1
	v_cndmask_b32_e64 v53, v46, v48, s[48:49]                  // 0000000130C4: D1000035 00C2612E
	v_perm_b32 v224, v53, v52, s52                             // 0000000130CC: D1ED00E0 00D26935
	v_cmp_u_f32_e64 s[48:49], v226, v226                       // 0000000130D4: D0480030 0003C5E2
	v_add3_u32 v46, v226, v49, 1                               // 0000000130DC: D1FF002E 020663E2
	v_cndmask_b32_e64 v52, v46, v48, s[48:49]                  // 0000000130E4: D1000034 00C2612E
	v_cmp_u_f32_e64 s[48:49], v227, v227                       // 0000000130EC: D0480030 0003C7E3
	v_add3_u32 v46, v227, v49, 1                               // 0000000130F4: D1FF002E 020663E3
	v_cndmask_b32_e64 v53, v46, v48, s[48:49]                  // 0000000130FC: D1000035 00C2612E
	v_perm_b32 v225, v53, v52, s52                             // 000000013104: D1ED00E1 00D26935
	v_cmp_u_f32_e64 s[48:49], v228, v228                       // 00000001310C: D0480030 0003C9E4
	v_add3_u32 v46, v228, v49, 1                               // 000000013114: D1FF002E 020663E4
	v_cndmask_b32_e64 v52, v46, v48, s[48:49]                  // 00000001311C: D1000034 00C2612E
	v_cmp_u_f32_e64 s[48:49], v229, v229                       // 000000013124: D0480030 0003CBE5
	v_add3_u32 v46, v229, v49, 1                               // 00000001312C: D1FF002E 020663E5
	v_cndmask_b32_e64 v53, v46, v48, s[48:49]                  // 000000013134: D1000035 00C2612E
	v_perm_b32 v226, v53, v52, s52                             // 00000001313C: D1ED00E2 00D26935
	v_cmp_u_f32_e64 s[48:49], v230, v230                       // 000000013144: D0480030 0003CDE6
	v_add3_u32 v46, v230, v49, 1                               // 00000001314C: D1FF002E 020663E6
	v_cndmask_b32_e64 v52, v46, v48, s[48:49]                  // 000000013154: D1000034 00C2612E
	v_cmp_u_f32_e64 s[48:49], v231, v231                       // 00000001315C: D0480030 0003CFE7
	v_add3_u32 v46, v231, v49, 1                               // 000000013164: D1FF002E 020663E7
	v_cndmask_b32_e64 v53, v46, v48, s[48:49]                  // 00000001316C: D1000035 00C2612E
	v_perm_b32 v227, v53, v52, s52                             // 000000013174: D1ED00E3 00D26935
	v_cmp_u_f32_e64 s[48:49], v232, v232                       // 00000001317C: D0480030 0003D1E8
	v_add3_u32 v46, v232, v49, 1                               // 000000013184: D1FF002E 020663E8
	v_cndmask_b32_e64 v52, v46, v48, s[48:49]                  // 00000001318C: D1000034 00C2612E
	v_cmp_u_f32_e64 s[48:49], v233, v233                       // 000000013194: D0480030 0003D3E9
	v_add3_u32 v46, v233, v49, 1                               // 00000001319C: D1FF002E 020663E9
	v_cndmask_b32_e64 v53, v46, v48, s[48:49]                  // 0000000131A4: D1000035 00C2612E
	v_perm_b32 v228, v53, v52, s52                             // 0000000131AC: D1ED00E4 00D26935
	v_cmp_u_f32_e64 s[48:49], v234, v234                       // 0000000131B4: D0480030 0003D5EA
	v_add3_u32 v46, v234, v49, 1                               // 0000000131BC: D1FF002E 020663EA
	v_cndmask_b32_e64 v52, v46, v48, s[48:49]                  // 0000000131C4: D1000034 00C2612E
	v_cmp_u_f32_e64 s[48:49], v235, v235                       // 0000000131CC: D0480030 0003D7EB
	v_add3_u32 v46, v235, v49, 1                               // 0000000131D4: D1FF002E 020663EB
	v_cndmask_b32_e64 v53, v46, v48, s[48:49]                  // 0000000131DC: D1000035 00C2612E
	v_perm_b32 v229, v53, v52, s52                             // 0000000131E4: D1ED00E5 00D26935
	v_cmp_u_f32_e64 s[48:49], v236, v236                       // 0000000131EC: D0480030 0003D9EC
	v_add3_u32 v46, v236, v49, 1                               // 0000000131F4: D1FF002E 020663EC
	v_cndmask_b32_e64 v52, v46, v48, s[48:49]                  // 0000000131FC: D1000034 00C2612E
	v_cmp_u_f32_e64 s[48:49], v237, v237                       // 000000013204: D0480030 0003DBED
	v_add3_u32 v46, v237, v49, 1                               // 00000001320C: D1FF002E 020663ED
	v_cndmask_b32_e64 v53, v46, v48, s[48:49]                  // 000000013214: D1000035 00C2612E
	v_perm_b32 v230, v53, v52, s52                             // 00000001321C: D1ED00E6 00D26935
	v_cmp_u_f32_e64 s[48:49], v238, v238                       // 000000013224: D0480030 0003DDEE
	v_add3_u32 v46, v238, v49, 1                               // 00000001322C: D1FF002E 020663EE
	v_cndmask_b32_e64 v52, v46, v48, s[48:49]                  // 000000013234: D1000034 00C2612E
	v_cmp_u_f32_e64 s[48:49], v239, v239                       // 00000001323C: D0480030 0003DFEF
	v_add3_u32 v46, v239, v49, 1                               // 000000013244: D1FF002E 020663EF
	v_cndmask_b32_e64 v53, v46, v48, s[48:49]                  // 00000001324C: D1000035 00C2612E
	v_perm_b32 v231, v53, v52, s52                             // 000000013254: D1ED00E7 00D26935
	v_cmp_u_f32_e64 s[48:49], v240, v240                       // 00000001325C: D0480030 0003E1F0
	v_add3_u32 v46, v240, v49, 1                               // 000000013264: D1FF002E 020663F0
	v_cndmask_b32_e64 v52, v46, v48, s[48:49]                  // 00000001326C: D1000034 00C2612E
	v_cmp_u_f32_e64 s[48:49], v241, v241                       // 000000013274: D0480030 0003E3F1
	v_add3_u32 v46, v241, v49, 1                               // 00000001327C: D1FF002E 020663F1
	v_cndmask_b32_e64 v53, v46, v48, s[48:49]                  // 000000013284: D1000035 00C2612E
	v_perm_b32 v232, v53, v52, s52                             // 00000001328C: D1ED00E8 00D26935
	v_cmp_u_f32_e64 s[48:49], v242, v242                       // 000000013294: D0480030 0003E5F2
	v_add3_u32 v46, v242, v49, 1                               // 00000001329C: D1FF002E 020663F2
	v_cndmask_b32_e64 v52, v46, v48, s[48:49]                  // 0000000132A4: D1000034 00C2612E
	v_cmp_u_f32_e64 s[48:49], v243, v243                       // 0000000132AC: D0480030 0003E7F3
	v_add3_u32 v46, v243, v49, 1                               // 0000000132B4: D1FF002E 020663F3
	v_cndmask_b32_e64 v53, v46, v48, s[48:49]                  // 0000000132BC: D1000035 00C2612E
	v_perm_b32 v233, v53, v52, s52                             // 0000000132C4: D1ED00E9 00D26935
	v_cmp_u_f32_e64 s[48:49], v244, v244                       // 0000000132CC: D0480030 0003E9F4
	v_add3_u32 v46, v244, v49, 1                               // 0000000132D4: D1FF002E 020663F4
	v_cndmask_b32_e64 v52, v46, v48, s[48:49]                  // 0000000132DC: D1000034 00C2612E
	v_cmp_u_f32_e64 s[48:49], v245, v245                       // 0000000132E4: D0480030 0003EBF5
	v_add3_u32 v46, v245, v49, 1                               // 0000000132EC: D1FF002E 020663F5
	v_cndmask_b32_e64 v53, v46, v48, s[48:49]                  // 0000000132F4: D1000035 00C2612E
	v_perm_b32 v234, v53, v52, s52                             // 0000000132FC: D1ED00EA 00D26935
	v_cmp_u_f32_e64 s[48:49], v246, v246                       // 000000013304: D0480030 0003EDF6
	v_add3_u32 v46, v246, v49, 1                               // 00000001330C: D1FF002E 020663F6
	v_cndmask_b32_e64 v52, v46, v48, s[48:49]                  // 000000013314: D1000034 00C2612E
	v_cmp_u_f32_e64 s[48:49], v247, v247                       // 00000001331C: D0480030 0003EFF7
	v_add3_u32 v46, v247, v49, 1                               // 000000013324: D1FF002E 020663F7
	v_cndmask_b32_e64 v53, v46, v48, s[48:49]                  // 00000001332C: D1000035 00C2612E
	v_perm_b32 v235, v53, v52, s52                             // 000000013334: D1ED00EB 00D26935
	v_cmp_u_f32_e64 s[48:49], v248, v248                       // 00000001333C: D0480030 0003F1F8
	v_add3_u32 v46, v248, v49, 1                               // 000000013344: D1FF002E 020663F8
	v_cndmask_b32_e64 v52, v46, v48, s[48:49]                  // 00000001334C: D1000034 00C2612E
	v_cmp_u_f32_e64 s[48:49], v249, v249                       // 000000013354: D0480030 0003F3F9
	v_add3_u32 v46, v249, v49, 1                               // 00000001335C: D1FF002E 020663F9
	v_cndmask_b32_e64 v53, v46, v48, s[48:49]                  // 000000013364: D1000035 00C2612E
	v_perm_b32 v236, v53, v52, s52                             // 00000001336C: D1ED00EC 00D26935
	v_cmp_u_f32_e64 s[48:49], v250, v250                       // 000000013374: D0480030 0003F5FA
	v_add3_u32 v46, v250, v49, 1                               // 00000001337C: D1FF002E 020663FA
	v_cndmask_b32_e64 v52, v46, v48, s[48:49]                  // 000000013384: D1000034 00C2612E
	v_cmp_u_f32_e64 s[48:49], v251, v251                       // 00000001338C: D0480030 0003F7FB
	v_add3_u32 v46, v251, v49, 1                               // 000000013394: D1FF002E 020663FB
	v_cndmask_b32_e64 v53, v46, v48, s[48:49]                  // 00000001339C: D1000035 00C2612E
	v_perm_b32 v237, v53, v52, s52                             // 0000000133A4: D1ED00ED 00D26935
	v_cmp_u_f32_e64 s[48:49], v252, v252                       // 0000000133AC: D0480030 0003F9FC
	v_add3_u32 v46, v252, v49, 1                               // 0000000133B4: D1FF002E 020663FC
	v_cndmask_b32_e64 v52, v46, v48, s[48:49]                  // 0000000133BC: D1000034 00C2612E
	v_cmp_u_f32_e64 s[48:49], v253, v253                       // 0000000133C4: D0480030 0003FBFD
	v_add3_u32 v46, v253, v49, 1                               // 0000000133CC: D1FF002E 020663FD
	v_cndmask_b32_e64 v53, v46, v48, s[48:49]                  // 0000000133D4: D1000035 00C2612E
	v_perm_b32 v238, v53, v52, s52                             // 0000000133DC: D1ED00EE 00D26935
	v_cmp_u_f32_e64 s[48:49], v254, v254                       // 0000000133E4: D0480030 0003FDFE
	v_add3_u32 v46, v254, v49, 1                               // 0000000133EC: D1FF002E 020663FE
	v_cndmask_b32_e64 v52, v46, v48, s[48:49]                  // 0000000133F4: D1000034 00C2612E
	v_cmp_u_f32_e64 s[48:49], v255, v255                       // 0000000133FC: D0480030 0003FFFF
	v_add3_u32 v46, v255, v49, 1                               // 000000013404: D1FF002E 020663FF
	v_cndmask_b32_e64 v53, v46, v48, s[48:49]                  // 00000001340C: D1000035 00C2612E
	v_perm_b32 v239, v53, v52, s52                             // 000000013414: D1ED00EF 00D26935
	ds_write_b64 v3, v[224:225] offset:35072                   // 00000001341C: D89A8900 0000E003
	ds_write_b64 v3, v[226:227] offset:43776                   // 000000013424: D89AAB00 0000E203
	ds_write_b64 v3, v[228:229] offset:37248                   // 00000001342C: D89A9180 0000E403
	ds_write_b64 v3, v[230:231] offset:45952                   // 000000013434: D89AB380 0000E603
	ds_write_b64 v3, v[232:233] offset:39424                   // 00000001343C: D89A9A00 0000E803
	ds_write_b64 v3, v[234:235] offset:48128                   // 000000013444: D89ABC00 0000EA03
	ds_write_b64 v3, v[236:237] offset:41600                   // 00000001344C: D89AA280 0000EC03
	ds_write_b64 v3, v[238:239] offset:50304                   // 000000013454: D89AC480 0000EE03
	s_waitcnt lgkmcnt(0)                                       // 00000001345C: BF8CC07F
	s_barrier                                                  // 000000013460: BF8A0000
	ds_read_b32 v64, v4 offset:35072                           // 000000013464: D86C8900 40000004
	ds_read_b32 v65, v4 offset:39424                           // 00000001346C: D86C9A00 41000004
	ds_read_b32 v66, v4 offset:35104                           // 000000013474: D86C8920 42000004
	ds_read_b32 v67, v4 offset:39456                           // 00000001347C: D86C9A20 43000004
	ds_read_b32 v68, v4 offset:35136                           // 000000013484: D86C8940 44000004
	ds_read_b32 v69, v4 offset:39488                           // 00000001348C: D86C9A40 45000004
	ds_read_b32 v70, v4 offset:35168                           // 000000013494: D86C8960 46000004
	ds_read_b32 v71, v4 offset:39520                           // 00000001349C: D86C9A60 47000004
	ds_read_b32 v72, v4 offset:43776                           // 0000000134A4: D86CAB00 48000004
	ds_read_b32 v73, v4 offset:48128                           // 0000000134AC: D86CBC00 49000004
	ds_read_b32 v74, v4 offset:43808                           // 0000000134B4: D86CAB20 4A000004
	ds_read_b32 v75, v4 offset:48160                           // 0000000134BC: D86CBC20 4B000004
	ds_read_b32 v76, v4 offset:43840                           // 0000000134C4: D86CAB40 4C000004
	ds_read_b32 v77, v4 offset:48192                           // 0000000134CC: D86CBC40 4D000004
	ds_read_b32 v78, v4 offset:43872                           // 0000000134D4: D86CAB60 4E000004
	ds_read_b32 v79, v4 offset:48224                           // 0000000134DC: D86CBC60 4F000004
	s_waitcnt lgkmcnt(0)                                       // 0000000134E4: BF8CC07F
	s_mov_b64 exec, s[20:21]                                   // 0000000134E8: BEFE0114
	global_atomic_pk_add_bf16 v80, v64, s[8:9]                 // 0000000134EC: DD488000 00084050
	s_mov_b64 exec, s[36:37]                                   // 0000000134F4: BEFE0124
	s_mov_b64 exec, s[20:21]                                   // 0000000134F8: BEFE0114
	global_atomic_pk_add_bf16 v80, v65, s[8:9] offset:256      // 0000000134FC: DD488100 00084150
	s_mov_b64 exec, s[36:37]                                   // 000000013504: BEFE0124
	s_mov_b64 exec, s[22:23]                                   // 000000013508: BEFE0116
	global_atomic_pk_add_bf16 v82, v66, s[8:9]                 // 00000001350C: DD488000 00084252
	s_mov_b64 exec, s[36:37]                                   // 000000013514: BEFE0124
	s_mov_b64 exec, s[22:23]                                   // 000000013518: BEFE0116
	global_atomic_pk_add_bf16 v82, v67, s[8:9] offset:256      // 00000001351C: DD488100 00084352
	s_mov_b64 exec, s[36:37]                                   // 000000013524: BEFE0124
	s_mov_b64 exec, s[24:25]                                   // 000000013528: BEFE0118
	global_atomic_pk_add_bf16 v84, v68, s[8:9]                 // 00000001352C: DD488000 00084454
	s_mov_b64 exec, s[36:37]                                   // 000000013534: BEFE0124
	s_mov_b64 exec, s[24:25]                                   // 000000013538: BEFE0118
	global_atomic_pk_add_bf16 v84, v69, s[8:9] offset:256      // 00000001353C: DD488100 00084554
	s_mov_b64 exec, s[36:37]                                   // 000000013544: BEFE0124
	s_mov_b64 exec, s[26:27]                                   // 000000013548: BEFE011A
	global_atomic_pk_add_bf16 v86, v70, s[8:9]                 // 00000001354C: DD488000 00084656
	s_mov_b64 exec, s[36:37]                                   // 000000013554: BEFE0124
	s_mov_b64 exec, s[26:27]                                   // 000000013558: BEFE011A
	global_atomic_pk_add_bf16 v86, v71, s[8:9] offset:256      // 00000001355C: DD488100 00084756
	s_mov_b64 exec, s[36:37]                                   // 000000013564: BEFE0124
	s_mov_b64 exec, s[28:29]                                   // 000000013568: BEFE011C
	global_atomic_pk_add_bf16 v88, v72, s[8:9]                 // 00000001356C: DD488000 00084858
	s_mov_b64 exec, s[36:37]                                   // 000000013574: BEFE0124
	s_mov_b64 exec, s[28:29]                                   // 000000013578: BEFE011C
	global_atomic_pk_add_bf16 v88, v73, s[8:9] offset:256      // 00000001357C: DD488100 00084958
	s_mov_b64 exec, s[36:37]                                   // 000000013584: BEFE0124
	s_mov_b64 exec, s[30:31]                                   // 000000013588: BEFE011E
	global_atomic_pk_add_bf16 v90, v74, s[8:9]                 // 00000001358C: DD488000 00084A5A
	s_mov_b64 exec, s[36:37]                                   // 000000013594: BEFE0124
	s_mov_b64 exec, s[30:31]                                   // 000000013598: BEFE011E
	global_atomic_pk_add_bf16 v90, v75, s[8:9] offset:256      // 00000001359C: DD488100 00084B5A
	s_mov_b64 exec, s[36:37]                                   // 0000000135A4: BEFE0124
	s_mov_b64 exec, s[32:33]                                   // 0000000135A8: BEFE0120
	global_atomic_pk_add_bf16 v92, v76, s[8:9]                 // 0000000135AC: DD488000 00084C5C
	s_mov_b64 exec, s[36:37]                                   // 0000000135B4: BEFE0124
	s_mov_b64 exec, s[32:33]                                   // 0000000135B8: BEFE0120
	global_atomic_pk_add_bf16 v92, v77, s[8:9] offset:256      // 0000000135BC: DD488100 00084D5C
	s_mov_b64 exec, s[36:37]                                   // 0000000135C4: BEFE0124
	s_mov_b64 exec, s[34:35]                                   // 0000000135C8: BEFE0122
	global_atomic_pk_add_bf16 v94, v78, s[8:9]                 // 0000000135CC: DD488000 00084E5E
	s_mov_b64 exec, s[36:37]                                   // 0000000135D4: BEFE0124
	s_mov_b64 exec, s[34:35]                                   // 0000000135D8: BEFE0122
	global_atomic_pk_add_bf16 v94, v79, s[8:9] offset:256      // 0000000135DC: DD488100 00084F5E
	s_mov_b64 exec, s[36:37]                                   // 0000000135E4: BEFE0124
	s_add_u32 s8, s59, s8                                      // 0000000135E8: 8008083B
	s_addc_u32 s9, 0, s9                                       // 0000000135EC: 82090980
	s_addk_i32 s80, 0x100                                      // 0000000135F0: B7500100
	s_cmp_lt_i32 s80, s81                                      // 0000000135F4: BF045150
	s_cbranch_scc0 label_42C0                                  // 0000000135F8: BF840001
	s_branch label_2D21                                        // 0000000135FC: BF82EA61

0000000000013600 <label_42C0>:
	s_nop 0                                                    // 000000013600: BF800000
	s_nop 0                                                    // 000000013604: BF800000
	s_branch label_42C3                                        // 000000013608: BF820000

000000000001360c <label_42C3>:
	s_waitcnt vmcnt(0) expcnt(0) lgkmcnt(0)                    // 00000001360C: BF8C0000
	s_endpgm                                                   // 000000013610: BF810000
